;; amdgpu-corpus repo=ROCm/rocFFT kind=compiled arch=gfx906 opt=O3
	.text
	.amdgcn_target "amdgcn-amd-amdhsa--gfx906"
	.amdhsa_code_object_version 6
	.protected	bluestein_single_fwd_len1820_dim1_dp_op_CI_CI ; -- Begin function bluestein_single_fwd_len1820_dim1_dp_op_CI_CI
	.globl	bluestein_single_fwd_len1820_dim1_dp_op_CI_CI
	.p2align	8
	.type	bluestein_single_fwd_len1820_dim1_dp_op_CI_CI,@function
bluestein_single_fwd_len1820_dim1_dp_op_CI_CI: ; @bluestein_single_fwd_len1820_dim1_dp_op_CI_CI
; %bb.0:
	s_load_dwordx4 s[16:19], s[4:5], 0x28
	s_mov_b64 s[50:51], s[2:3]
	v_mul_u32_u24_e32 v1, 0x169, v0
	s_mov_b64 s[48:49], s[0:1]
	v_add_u32_sdwa v4, s6, v1 dst_sel:DWORD dst_unused:UNUSED_PAD src0_sel:DWORD src1_sel:WORD_1
	v_mov_b32_e32 v5, 0
	s_add_u32 s48, s48, s7
	s_waitcnt lgkmcnt(0)
	v_cmp_gt_u64_e32 vcc, s[16:17], v[4:5]
	s_addc_u32 s49, s49, 0
	s_and_saveexec_b64 s[0:1], vcc
	s_cbranch_execz .LBB0_18
; %bb.1:
	s_load_dwordx4 s[8:11], s[4:5], 0x18
	s_load_dwordx4 s[12:15], s[4:5], 0x0
	s_movk_i32 s6, 0xb6
	v_mul_lo_u16_sdwa v1, v1, s6 dst_sel:DWORD dst_unused:UNUSED_PAD src0_sel:WORD_1 src1_sel:DWORD
	v_sub_u16_e32 v80, v0, v1
	s_waitcnt lgkmcnt(0)
	s_load_dwordx4 s[0:3], s[8:9], 0x0
	v_mov_b32_e32 v5, v4
	buffer_store_dword v5, off, s[48:51], 0 offset:4 ; 4-byte Folded Spill
	s_nop 0
	buffer_store_dword v6, off, s[48:51], 0 offset:8 ; 4-byte Folded Spill
	v_lshlrev_b32_e32 v255, 4, v80
	s_mov_b32 s16, 0x372fe950
	s_waitcnt lgkmcnt(0)
	v_mad_u64_u32 v[0:1], s[6:7], s2, v4, 0
	v_mad_u64_u32 v[2:3], s[6:7], s0, v80, 0
	s_mul_hi_u32 s6, s0, 0xb60
	s_mulk_i32 s0, 0xb60
	v_mad_u64_u32 v[4:5], s[2:3], s3, v4, v[1:2]
	s_mov_b32 s17, 0x3fd3c6ef
	s_mov_b32 s21, 0xbfe2cf23
	v_mad_u64_u32 v[5:6], s[2:3], s1, v80, v[3:4]
	v_mov_b32_e32 v1, v4
	v_lshlrev_b64 v[0:1], 4, v[0:1]
	v_mov_b32_e32 v6, s19
	v_mov_b32_e32 v3, v5
	v_add_co_u32_e32 v4, vcc, s18, v0
	v_addc_co_u32_e32 v5, vcc, v6, v1, vcc
	v_lshlrev_b64 v[0:1], 4, v[2:3]
	v_add_co_u32_e64 v202, s[2:3], s12, v255
	v_add_co_u32_e32 v8, vcc, v4, v0
	v_mov_b32_e32 v0, s13
	s_mulk_i32 s1, 0xb60
	v_addc_co_u32_e32 v9, vcc, v5, v1, vcc
	v_addc_co_u32_e64 v41, vcc, 0, v0, s[2:3]
	s_add_i32 s1, s6, s1
	v_mov_b32_e32 v0, s1
	v_add_co_u32_e32 v10, vcc, s0, v8
	v_addc_co_u32_e32 v11, vcc, v9, v0, vcc
	global_load_dwordx4 v[0:3], v[8:9], off
	global_load_dwordx4 v[4:7], v[10:11], off
	global_load_dwordx4 v[81:84], v255, s[12:13]
	global_load_dwordx4 v[64:67], v255, s[12:13] offset:2912
	v_mov_b32_e32 v8, s1
	v_add_co_u32_e32 v12, vcc, s0, v10
	v_addc_co_u32_e32 v13, vcc, v11, v8, vcc
	s_movk_i32 s6, 0x1000
	v_add_co_u32_e32 v14, vcc, s6, v202
	v_addc_co_u32_e32 v15, vcc, 0, v41, vcc
	global_load_dwordx4 v[52:55], v[14:15], off offset:1728
	v_mov_b32_e32 v14, s1
	v_add_co_u32_e32 v16, vcc, s0, v12
	v_addc_co_u32_e32 v17, vcc, v13, v14, vcc
	s_movk_i32 s6, 0x2000
	v_add_co_u32_e32 v20, vcc, s6, v202
	v_addc_co_u32_e32 v21, vcc, 0, v41, vcc
	v_mov_b32_e32 v18, s1
	v_add_co_u32_e32 v22, vcc, s0, v16
	v_addc_co_u32_e32 v23, vcc, v17, v18, vcc
	global_load_dwordx4 v[8:11], v[12:13], off
	v_add_co_u32_e32 v24, vcc, s0, v22
	global_load_dwordx4 v[12:15], v[16:17], off
	s_nop 0
	global_load_dwordx4 v[16:19], v[22:23], off
	global_load_dwordx4 v[76:79], v[20:21], off offset:544
	global_load_dwordx4 v[56:59], v[20:21], off offset:3456
	v_mov_b32_e32 v20, s1
	v_addc_co_u32_e32 v25, vcc, v23, v20, vcc
	s_movk_i32 s6, 0x3000
	v_add_co_u32_e32 v26, vcc, s6, v202
	v_addc_co_u32_e32 v27, vcc, 0, v41, vcc
	global_load_dwordx4 v[60:63], v[26:27], off offset:2272
	v_mov_b32_e32 v26, s1
	v_add_co_u32_e32 v28, vcc, s0, v24
	v_addc_co_u32_e32 v29, vcc, v25, v26, vcc
	s_movk_i32 s6, 0x4000
	v_add_co_u32_e32 v32, vcc, s6, v202
	v_addc_co_u32_e32 v33, vcc, 0, v41, vcc
	v_mov_b32_e32 v30, s1
	v_add_co_u32_e32 v34, vcc, s0, v28
	v_addc_co_u32_e32 v35, vcc, v29, v30, vcc
	global_load_dwordx4 v[20:23], v[24:25], off
	v_add_co_u32_e32 v36, vcc, s0, v34
	global_load_dwordx4 v[24:27], v[28:29], off
	s_nop 0
	global_load_dwordx4 v[28:31], v[34:35], off
	global_load_dwordx4 v[85:88], v[32:33], off offset:1088
	global_load_dwordx4 v[68:71], v[32:33], off offset:4000
	v_mov_b32_e32 v32, s1
	v_addc_co_u32_e32 v37, vcc, v35, v32, vcc
	s_movk_i32 s6, 0x5000
	v_add_co_u32_e32 v38, vcc, s6, v202
	v_addc_co_u32_e32 v39, vcc, 0, v41, vcc
	global_load_dwordx4 v[32:35], v[36:37], off
	global_load_dwordx4 v[48:51], v[38:39], off offset:2816
	v_mov_b32_e32 v38, s1
	v_add_co_u32_e32 v36, vcc, s0, v36
	v_addc_co_u32_e32 v37, vcc, v37, v38, vcc
	s_movk_i32 s0, 0x6000
	v_add_co_u32_e32 v40, vcc, s0, v202
	v_addc_co_u32_e32 v41, vcc, 0, v41, vcc
	global_load_dwordx4 v[72:75], v[40:41], off offset:1632
	s_waitcnt vmcnt(16)
	v_mul_f64 v[40:41], v[2:3], v[83:84]
	s_waitcnt vmcnt(15)
	v_mul_f64 v[44:45], v[6:7], v[66:67]
	global_load_dwordx4 v[36:39], v[36:37], off
	v_mul_f64 v[42:43], v[0:1], v[83:84]
	v_mul_f64 v[46:47], v[4:5], v[66:67]
	s_mov_b32 s0, 0x134454ff
	s_mov_b32 s1, 0x3fee6f0e
	s_load_dwordx2 s[6:7], s[4:5], 0x38
	v_fma_f64 v[0:1], v[0:1], v[81:82], v[40:41]
	buffer_store_dword v81, off, s[48:51], 0 offset:140 ; 4-byte Folded Spill
	s_nop 0
	buffer_store_dword v82, off, s[48:51], 0 offset:144 ; 4-byte Folded Spill
	buffer_store_dword v83, off, s[48:51], 0 offset:148 ; 4-byte Folded Spill
	buffer_store_dword v84, off, s[48:51], 0 offset:152 ; 4-byte Folded Spill
	v_fma_f64 v[4:5], v[4:5], v[64:65], v[44:45]
	buffer_store_dword v64, off, s[48:51], 0 offset:76 ; 4-byte Folded Spill
	s_nop 0
	buffer_store_dword v65, off, s[48:51], 0 offset:80 ; 4-byte Folded Spill
	buffer_store_dword v66, off, s[48:51], 0 offset:84 ; 4-byte Folded Spill
	;; [unrolled: 1-line block ×3, first 2 shown]
	s_load_dwordx4 s[8:11], s[10:11], 0x0
	s_mov_b32 s4, 0x4755a5e
	s_mov_b32 s5, 0x3fe2cf23
	;; [unrolled: 1-line block ×7, first 2 shown]
	s_waitcnt vmcnt(18)
	v_mul_f64 v[40:41], v[18:19], v[58:59]
	s_waitcnt vmcnt(16)
	v_mul_f64 v[44:45], v[22:23], v[62:63]
	v_fma_f64 v[2:3], v[2:3], v[81:82], -v[42:43]
	v_mul_f64 v[42:43], v[16:17], v[58:59]
	v_fma_f64 v[6:7], v[6:7], v[64:65], -v[46:47]
	ds_write_b128 v255, v[0:3]
	ds_write_b128 v255, v[4:7] offset:2912
	v_mul_f64 v[0:1], v[10:11], v[54:55]
	v_mul_f64 v[4:5], v[14:15], v[78:79]
	;; [unrolled: 1-line block ×5, first 2 shown]
	v_fma_f64 v[0:1], v[8:9], v[52:53], v[0:1]
	buffer_store_dword v52, off, s[48:51], 0 offset:28 ; 4-byte Folded Spill
	s_nop 0
	buffer_store_dword v53, off, s[48:51], 0 offset:32 ; 4-byte Folded Spill
	buffer_store_dword v54, off, s[48:51], 0 offset:36 ; 4-byte Folded Spill
	buffer_store_dword v55, off, s[48:51], 0 offset:40 ; 4-byte Folded Spill
	v_fma_f64 v[4:5], v[12:13], v[76:77], v[4:5]
	buffer_store_dword v76, off, s[48:51], 0 offset:124 ; 4-byte Folded Spill
	s_nop 0
	buffer_store_dword v77, off, s[48:51], 0 offset:128 ; 4-byte Folded Spill
	buffer_store_dword v78, off, s[48:51], 0 offset:132 ; 4-byte Folded Spill
	buffer_store_dword v79, off, s[48:51], 0 offset:136 ; 4-byte Folded Spill
	;; [unrolled: 6-line block ×4, first 2 shown]
	s_waitcnt vmcnt(29)
	v_mul_f64 v[16:17], v[26:27], v[87:88]
	s_waitcnt vmcnt(28)
	v_mul_f64 v[20:21], v[30:31], v[70:71]
	s_waitcnt vmcnt(26)
	v_mul_f64 v[40:41], v[34:35], v[50:51]
	s_waitcnt vmcnt(24)
	v_mul_f64 v[44:45], v[38:39], v[74:75]
	v_fma_f64 v[16:17], v[24:25], v[85:86], v[16:17]
	v_fma_f64 v[20:21], v[28:29], v[68:69], v[20:21]
	v_fma_f64 v[2:3], v[10:11], v[52:53], -v[2:3]
	v_fma_f64 v[6:7], v[14:15], v[76:77], -v[6:7]
	;; [unrolled: 1-line block ×3, first 2 shown]
	v_mul_f64 v[18:19], v[24:25], v[87:88]
	buffer_store_dword v85, off, s[48:51], 0 offset:156 ; 4-byte Folded Spill
	s_nop 0
	buffer_store_dword v86, off, s[48:51], 0 offset:160 ; 4-byte Folded Spill
	buffer_store_dword v87, off, s[48:51], 0 offset:164 ; 4-byte Folded Spill
	;; [unrolled: 1-line block ×3, first 2 shown]
	v_fma_f64 v[14:15], v[22:23], v[60:61], -v[46:47]
	v_mul_f64 v[22:23], v[28:29], v[70:71]
	buffer_store_dword v68, off, s[48:51], 0 offset:92 ; 4-byte Folded Spill
	s_nop 0
	buffer_store_dword v69, off, s[48:51], 0 offset:96 ; 4-byte Folded Spill
	buffer_store_dword v70, off, s[48:51], 0 offset:100 ; 4-byte Folded Spill
	;; [unrolled: 1-line block ×3, first 2 shown]
	v_mul_f64 v[42:43], v[32:33], v[50:51]
	v_fma_f64 v[24:25], v[32:33], v[48:49], v[40:41]
	buffer_store_dword v48, off, s[48:51], 0 offset:12 ; 4-byte Folded Spill
	s_nop 0
	buffer_store_dword v49, off, s[48:51], 0 offset:16 ; 4-byte Folded Spill
	buffer_store_dword v50, off, s[48:51], 0 offset:20 ; 4-byte Folded Spill
	;; [unrolled: 1-line block ×3, first 2 shown]
	v_mul_f64 v[46:47], v[36:37], v[74:75]
	v_fma_f64 v[28:29], v[36:37], v[72:73], v[44:45]
	buffer_store_dword v72, off, s[48:51], 0 offset:108 ; 4-byte Folded Spill
	s_nop 0
	buffer_store_dword v73, off, s[48:51], 0 offset:112 ; 4-byte Folded Spill
	buffer_store_dword v74, off, s[48:51], 0 offset:116 ; 4-byte Folded Spill
	;; [unrolled: 1-line block ×3, first 2 shown]
                                        ; implicit-def: $vgpr88_vgpr89
	v_fma_f64 v[18:19], v[26:27], v[85:86], -v[18:19]
                                        ; implicit-def: $vgpr84_vgpr85
	v_fma_f64 v[22:23], v[30:31], v[68:69], -v[22:23]
	v_fma_f64 v[26:27], v[34:35], v[48:49], -v[42:43]
	;; [unrolled: 1-line block ×3, first 2 shown]
	ds_write_b128 v255, v[0:3] offset:5824
	ds_write_b128 v255, v[4:7] offset:8736
	;; [unrolled: 1-line block ×8, first 2 shown]
	s_waitcnt vmcnt(0) lgkmcnt(0)
	s_barrier
	ds_read_b128 v[0:3], v255
	ds_read_b128 v[4:7], v255 offset:2912
	ds_read_b128 v[8:11], v255 offset:5824
	ds_read_b128 v[12:15], v255 offset:11648
	ds_read_b128 v[16:19], v255 offset:17472
	ds_read_b128 v[20:23], v255 offset:8736
	ds_read_b128 v[24:27], v255 offset:14560
	s_waitcnt lgkmcnt(4)
	v_add_f64 v[36:37], v[0:1], v[8:9]
	ds_read_b128 v[28:31], v255 offset:20384
	ds_read_b128 v[32:35], v255 offset:23296
	s_waitcnt lgkmcnt(4)
	v_add_f64 v[40:41], v[12:13], v[16:17]
	v_add_f64 v[48:49], v[14:15], -v[18:19]
	v_add_f64 v[50:51], v[8:9], -v[12:13]
	s_waitcnt lgkmcnt(0)
	v_add_f64 v[44:45], v[10:11], -v[34:35]
	v_add_f64 v[42:43], v[36:37], v[12:13]
	v_add_f64 v[52:53], v[32:33], -v[16:17]
	v_add_f64 v[54:55], v[8:9], v[32:33]
	v_fma_f64 v[40:41], v[40:41], -0.5, v[0:1]
	v_add_f64 v[56:57], v[34:35], -v[18:19]
	ds_read_b128 v[36:39], v255 offset:26208
	s_waitcnt lgkmcnt(0)
	s_barrier
	v_add_f64 v[42:43], v[42:43], v[16:17]
	v_fma_f64 v[0:1], v[54:55], -0.5, v[0:1]
	v_fma_f64 v[46:47], v[44:45], s[0:1], v[40:41]
	v_fma_f64 v[40:41], v[44:45], s[18:19], v[40:41]
	v_add_f64 v[54:55], v[8:9], -v[32:33]
	v_add_f64 v[8:9], v[12:13], -v[8:9]
	;; [unrolled: 1-line block ×3, first 2 shown]
	v_add_f64 v[60:61], v[42:43], v[32:33]
	v_add_f64 v[32:33], v[16:17], -v[32:33]
	v_add_f64 v[16:17], v[10:11], -v[14:15]
	v_fma_f64 v[42:43], v[48:49], s[4:5], v[46:47]
	v_add_f64 v[46:47], v[50:51], v[52:53]
	v_add_f64 v[50:51], v[14:15], v[18:19]
	v_add_f64 v[52:53], v[2:3], v[10:11]
	v_fma_f64 v[40:41], v[48:49], s[20:21], v[40:41]
	v_add_f64 v[8:9], v[8:9], v[32:33]
	v_add_f64 v[32:33], v[10:11], v[34:35]
	;; [unrolled: 1-line block ×3, first 2 shown]
	v_fma_f64 v[62:63], v[46:47], s[16:17], v[42:43]
	v_fma_f64 v[42:43], v[48:49], s[18:19], v[0:1]
	v_fma_f64 v[50:51], v[50:51], -0.5, v[2:3]
	v_fma_f64 v[0:1], v[48:49], s[0:1], v[0:1]
	v_add_f64 v[48:49], v[52:53], v[14:15]
	v_fma_f64 v[66:67], v[46:47], s[16:17], v[40:41]
	v_add_f64 v[40:41], v[24:25], v[28:29]
	v_fma_f64 v[2:3], v[32:33], -0.5, v[2:3]
	v_add_f64 v[32:33], v[4:5], v[20:21]
	v_fma_f64 v[42:43], v[44:45], s[4:5], v[42:43]
	v_fma_f64 v[52:53], v[54:55], s[18:19], v[50:51]
	;; [unrolled: 1-line block ×3, first 2 shown]
	v_add_f64 v[44:45], v[48:49], v[18:19]
	v_add_f64 v[10:11], v[14:15], -v[10:11]
	v_fma_f64 v[40:41], v[40:41], -0.5, v[4:5]
	v_add_f64 v[14:15], v[18:19], -v[34:35]
	v_add_f64 v[18:19], v[32:33], v[24:25]
	v_fma_f64 v[68:69], v[8:9], s[16:17], v[42:43]
	v_fma_f64 v[46:47], v[12:13], s[20:21], v[52:53]
	v_add_f64 v[42:43], v[22:23], -v[38:39]
	v_fma_f64 v[0:1], v[8:9], s[16:17], v[0:1]
	v_add_f64 v[8:9], v[44:45], v[34:35]
	v_fma_f64 v[44:45], v[54:55], s[0:1], v[50:51]
	v_add_f64 v[34:35], v[26:27], -v[30:31]
	v_add_f64 v[48:49], v[20:21], -v[24:25]
	;; [unrolled: 1-line block ×3, first 2 shown]
	v_fma_f64 v[70:71], v[16:17], s[16:17], v[46:47]
	v_fma_f64 v[46:47], v[12:13], s[0:1], v[2:3]
	;; [unrolled: 1-line block ×5, first 2 shown]
	v_add_f64 v[44:45], v[20:21], v[36:37]
	v_add_f64 v[10:11], v[10:11], v[14:15]
	;; [unrolled: 1-line block ×3, first 2 shown]
	v_fma_f64 v[46:47], v[54:55], s[20:21], v[46:47]
	v_fma_f64 v[2:3], v[54:55], s[4:5], v[2:3]
	;; [unrolled: 1-line block ×3, first 2 shown]
	v_add_f64 v[32:33], v[48:49], v[50:51]
	v_fma_f64 v[12:13], v[16:17], s[16:17], v[12:13]
	v_fma_f64 v[4:5], v[44:45], -0.5, v[4:5]
	v_fma_f64 v[16:17], v[42:43], s[18:19], v[40:41]
	v_add_f64 v[40:41], v[26:27], v[30:31]
	v_fma_f64 v[74:75], v[10:11], s[16:17], v[46:47]
	v_fma_f64 v[2:3], v[10:11], s[16:17], v[2:3]
	v_add_f64 v[10:11], v[14:15], v[36:37]
	v_fma_f64 v[14:15], v[32:33], s[16:17], v[18:19]
	v_add_f64 v[18:19], v[22:23], v[38:39]
	v_fma_f64 v[44:45], v[34:35], s[18:19], v[4:5]
	v_add_f64 v[46:47], v[20:21], -v[36:37]
	v_fma_f64 v[40:41], v[40:41], -0.5, v[6:7]
	v_add_f64 v[20:21], v[24:25], -v[20:21]
	v_add_f64 v[36:37], v[28:29], -v[36:37]
	;; [unrolled: 1-line block ×3, first 2 shown]
	v_fma_f64 v[4:5], v[34:35], s[0:1], v[4:5]
	v_fma_f64 v[18:19], v[18:19], -0.5, v[6:7]
	v_fma_f64 v[16:17], v[34:35], s[20:21], v[16:17]
	v_fma_f64 v[28:29], v[42:43], s[4:5], v[44:45]
	v_add_f64 v[6:7], v[6:7], v[22:23]
	v_fma_f64 v[34:35], v[46:47], s[18:19], v[40:41]
	v_add_f64 v[44:45], v[22:23], -v[26:27]
	v_add_f64 v[48:49], v[38:39], -v[30:31]
	v_add_f64 v[20:21], v[20:21], v[36:37]
	v_fma_f64 v[36:37], v[24:25], s[0:1], v[18:19]
	v_add_f64 v[22:23], v[26:27], -v[22:23]
	v_add_f64 v[50:51], v[30:31], -v[38:39]
	v_fma_f64 v[4:5], v[42:43], s[20:21], v[4:5]
	v_fma_f64 v[40:41], v[46:47], s[0:1], v[40:41]
	;; [unrolled: 1-line block ×3, first 2 shown]
	v_add_f64 v[6:7], v[6:7], v[26:27]
	v_fma_f64 v[26:27], v[24:25], s[20:21], v[34:35]
	v_add_f64 v[34:35], v[44:45], v[48:49]
	v_fma_f64 v[36:37], v[46:47], s[20:21], v[36:37]
	;; [unrolled: 2-line block ×3, first 2 shown]
	v_fma_f64 v[4:5], v[20:21], s[16:17], v[4:5]
	v_fma_f64 v[20:21], v[24:25], s[4:5], v[40:41]
	v_fma_f64 v[18:19], v[46:47], s[4:5], v[18:19]
	v_fma_f64 v[16:17], v[32:33], s[16:17], v[16:17]
	v_add_f64 v[6:7], v[6:7], v[30:31]
	v_fma_f64 v[24:25], v[34:35], s[16:17], v[26:27]
	v_fma_f64 v[26:27], v[22:23], s[16:17], v[36:37]
	v_mul_f64 v[30:31], v[14:15], s[22:23]
	v_mul_f64 v[32:33], v[4:5], s[16:17]
	v_fma_f64 v[20:21], v[34:35], s[16:17], v[20:21]
	v_fma_f64 v[18:19], v[22:23], s[16:17], v[18:19]
	v_mul_f64 v[34:35], v[16:17], s[22:23]
	v_add_f64 v[6:7], v[6:7], v[38:39]
	v_mul_f64 v[14:15], v[14:15], s[20:21]
	v_mul_f64 v[22:23], v[26:27], s[0:1]
	;; [unrolled: 1-line block ×3, first 2 shown]
	v_fma_f64 v[30:31], v[24:25], s[4:5], v[30:31]
	v_mul_f64 v[42:43], v[20:21], s[22:23]
	v_mul_f64 v[38:39], v[18:19], s[16:17]
	v_fma_f64 v[18:19], v[18:19], s[0:1], -v[32:33]
	v_fma_f64 v[20:21], v[20:21], s[4:5], -v[34:35]
	v_fma_f64 v[14:15], v[24:25], s[22:23], v[14:15]
	v_fma_f64 v[22:23], v[28:29], s[16:17], v[22:23]
	;; [unrolled: 1-line block ×3, first 2 shown]
	v_add_f64 v[40:41], v[60:61], v[10:11]
	v_fma_f64 v[16:17], v[16:17], s[20:21], -v[42:43]
	v_fma_f64 v[4:5], v[4:5], s[18:19], -v[38:39]
	v_add_f64 v[44:45], v[62:63], v[30:31]
	v_add_f64 v[52:53], v[0:1], v[18:19]
	;; [unrolled: 1-line block ×9, first 2 shown]
	v_add_f64 v[60:61], v[60:61], -v[10:11]
	v_add_f64 v[64:65], v[62:63], -v[30:31]
	;; [unrolled: 1-line block ×10, first 2 shown]
	v_mul_lo_u16_e32 v0, 10, v80
	s_movk_i32 s0, 0x8c
	v_lshlrev_b32_e32 v216, 4, v0
	v_cmp_gt_u16_e32 vcc, s0, v80
	ds_write_b128 v216, v[40:43]
	ds_write_b128 v216, v[44:47] offset:16
	ds_write_b128 v216, v[48:51] offset:32
	;; [unrolled: 1-line block ×9, first 2 shown]
	s_waitcnt lgkmcnt(0)
	s_barrier
	buffer_store_dword v80, off, s[48:51], 0 ; 4-byte Folded Spill
                                        ; implicit-def: $vgpr80_vgpr81
	s_and_saveexec_b64 s[0:1], vcc
	s_cbranch_execz .LBB0_3
; %bb.2:
	ds_read_b128 v[40:43], v255
	ds_read_b128 v[44:47], v255 offset:2240
	ds_read_b128 v[48:51], v255 offset:4480
	;; [unrolled: 1-line block ×12, first 2 shown]
.LBB0_3:
	s_or_b64 exec, exec, s[0:1]
	buffer_load_dword v1, off, s[48:51], 0  ; 4-byte Folded Reload
	s_movk_i32 s0, 0xcd
	s_mov_b32 s25, 0xbfddbe06
	s_mov_b32 s24, 0x4267c47c
	s_mov_b32 s26, 0x42a4c3d2
	s_mov_b32 s27, 0xbfea55e2
	s_mov_b32 s30, 0x66966769
	s_mov_b32 s31, 0xbfefc445
	s_mov_b32 s28, 0x2ef20147
	s_mov_b32 s34, 0x24c2f84
	s_mov_b32 s29, 0xbfedeba7
	s_mov_b32 s35, 0xbfe5384d
	s_mov_b32 s36, 0x4bc48dbf
	s_mov_b32 s37, 0xbfcea1e5
	s_mov_b32 s4, 0x1ea71119
	s_mov_b32 s5, 0x3fe22d96
	s_mov_b32 s16, 0xebaa3ed8
	s_mov_b32 s17, 0x3fbedb7d
	s_mov_b32 s18, 0xb2365da1
	s_mov_b32 s20, 0xd0032e0c
	s_mov_b32 s19, 0xbfd6b1d8
	s_mov_b32 s21, 0xbfe7f3cc
	s_mov_b32 s22, 0x93053d00
	s_mov_b32 s23, 0xbfef11f4
	s_mov_b32 s41, 0x3fe5384d
	s_mov_b32 s40, s34
	s_mov_b32 s39, 0x3fedeba7
	s_mov_b32 s38, s28
	s_waitcnt vmcnt(0)
	v_mul_lo_u16_sdwa v0, v1, s0 dst_sel:DWORD dst_unused:UNUSED_PAD src0_sel:BYTE_0 src1_sel:DWORD
	v_lshrrev_b16_e32 v0, 11, v0
	buffer_store_dword v0, off, s[48:51], 0 offset:172 ; 4-byte Folded Spill
	v_mul_lo_u16_e32 v0, 10, v0
	v_sub_u16_e32 v0, v1, v0
	v_and_b32_e32 v0, 0xff, v0
	buffer_store_dword v0, off, s[48:51], 0 offset:176 ; 4-byte Folded Spill
	v_mul_u32_u24_e32 v0, 12, v0
	v_lshlrev_b32_e32 v0, 4, v0
	global_load_dwordx4 v[136:139], v0, s[14:15]
	global_load_dwordx4 v[132:135], v0, s[14:15] offset:16
	global_load_dwordx4 v[124:127], v0, s[14:15] offset:32
	;; [unrolled: 1-line block ×11, first 2 shown]
	s_mov_b32 s0, 0xe00740e9
	s_mov_b32 s1, 0x3fec55a7
	s_waitcnt vmcnt(11) lgkmcnt(11)
	v_mul_f64 v[0:1], v[46:47], v[138:139]
	v_mul_f64 v[2:3], v[44:45], v[138:139]
	s_waitcnt vmcnt(10) lgkmcnt(10)
	v_mul_f64 v[4:5], v[50:51], v[134:135]
	v_mul_f64 v[6:7], v[48:49], v[134:135]
	;; [unrolled: 3-line block ×3, first 2 shown]
	s_waitcnt vmcnt(8) lgkmcnt(8)
	v_mul_f64 v[12:13], v[58:59], v[118:119]
	s_waitcnt vmcnt(4) lgkmcnt(0)
	v_mul_f64 v[28:29], v[88:89], v[114:115]
	v_mul_f64 v[34:35], v[90:91], v[114:115]
	s_waitcnt vmcnt(2)
	v_mul_f64 v[32:33], v[84:85], v[146:147]
	v_mul_f64 v[92:93], v[86:87], v[146:147]
	s_waitcnt vmcnt(0)
	v_mul_f64 v[98:99], v[80:81], v[154:155]
	v_fma_f64 v[180:181], v[44:45], v[136:137], -v[0:1]
	v_fma_f64 v[182:183], v[46:47], v[136:137], v[2:3]
	v_mul_f64 v[96:97], v[82:83], v[154:155]
	v_fma_f64 v[44:45], v[90:91], v[112:113], v[28:29]
	v_fma_f64 v[46:47], v[88:89], v[112:113], -v[34:35]
	v_fma_f64 v[176:177], v[48:49], v[132:133], -v[4:5]
	v_fma_f64 v[178:179], v[50:51], v[132:133], v[6:7]
	v_fma_f64 v[174:175], v[54:55], v[124:125], v[10:11]
	;; [unrolled: 1-line block ×3, first 2 shown]
	v_fma_f64 v[50:51], v[84:85], v[144:145], -v[92:93]
	v_fma_f64 v[54:55], v[82:83], v[152:153], v[98:99]
	v_add_f64 v[82:83], v[182:183], -v[44:45]
	v_add_f64 v[88:89], v[180:181], -v[46:47]
	v_mul_f64 v[14:15], v[56:57], v[118:119]
	v_mul_f64 v[16:17], v[62:63], v[142:143]
	;; [unrolled: 1-line block ×7, first 2 shown]
	v_fma_f64 v[172:173], v[52:53], v[124:125], -v[8:9]
	v_fma_f64 v[52:53], v[80:81], v[152:153], -v[96:97]
	v_add_f64 v[84:85], v[178:179], -v[48:49]
	v_add_f64 v[90:91], v[176:177], -v[50:51]
	v_mul_f64 v[0:1], v[82:83], s[24:25]
	v_mul_f64 v[6:7], v[88:89], s[24:25]
	;; [unrolled: 1-line block ×6, first 2 shown]
	v_fma_f64 v[168:169], v[56:57], v[116:117], -v[12:13]
	v_fma_f64 v[170:171], v[58:59], v[116:117], v[14:15]
	v_fma_f64 v[164:165], v[60:61], v[140:141], -v[16:17]
	v_fma_f64 v[166:167], v[62:63], v[140:141], v[18:19]
	;; [unrolled: 2-line block ×4, first 2 shown]
	v_add_f64 v[184:185], v[174:175], -v[54:55]
	v_add_f64 v[188:189], v[172:173], -v[52:53]
	v_mul_f64 v[8:9], v[84:85], s[26:27]
	v_mul_f64 v[10:11], v[90:91], s[26:27]
	buffer_store_dword v0, off, s[48:51], 0 offset:180 ; 4-byte Folded Spill
	s_nop 0
	buffer_store_dword v1, off, s[48:51], 0 offset:184 ; 4-byte Folded Spill
	buffer_store_dword v6, off, s[48:51], 0 offset:188 ; 4-byte Folded Spill
	s_nop 0
	buffer_store_dword v7, off, s[48:51], 0 offset:192 ; 4-byte Folded Spill
	v_fma_f64 v[160:161], v[64:65], v[128:129], -v[20:21]
	v_fma_f64 v[162:163], v[66:67], v[128:129], v[22:23]
	v_fma_f64 v[64:65], v[68:69], v[120:121], -v[24:25]
	v_fma_f64 v[66:67], v[70:71], v[120:121], v[26:27]
	v_add_f64 v[190:191], v[170:171], -v[58:59]
	v_add_f64 v[196:197], v[168:169], -v[56:57]
	;; [unrolled: 1-line block ×4, first 2 shown]
	v_mul_f64 v[12:13], v[184:185], s[30:31]
	v_mul_f64 v[14:15], v[188:189], s[30:31]
	buffer_store_dword v8, off, s[48:51], 0 offset:252 ; 4-byte Folded Spill
	s_nop 0
	buffer_store_dword v9, off, s[48:51], 0 offset:256 ; 4-byte Folded Spill
	buffer_store_dword v10, off, s[48:51], 0 offset:268 ; 4-byte Folded Spill
	s_nop 0
	buffer_store_dword v11, off, s[48:51], 0 offset:272 ; 4-byte Folded Spill
	v_add_f64 v[203:204], v[162:163], -v[66:67]
	v_add_f64 v[205:206], v[160:161], -v[64:65]
	v_mul_f64 v[18:19], v[190:191], s[28:29]
	v_mul_f64 v[26:27], v[196:197], s[28:29]
	;; [unrolled: 1-line block ×4, first 2 shown]
	buffer_store_dword v12, off, s[48:51], 0 offset:236 ; 4-byte Folded Spill
	s_nop 0
	buffer_store_dword v13, off, s[48:51], 0 offset:240 ; 4-byte Folded Spill
	buffer_store_dword v14, off, s[48:51], 0 offset:260 ; 4-byte Folded Spill
	s_nop 0
	buffer_store_dword v15, off, s[48:51], 0 offset:264 ; 4-byte Folded Spill
	v_mul_f64 v[28:29], v[82:83], s[26:27]
	v_mul_f64 v[20:21], v[203:204], s[36:37]
	;; [unrolled: 1-line block ×4, first 2 shown]
	buffer_store_dword v18, off, s[48:51], 0 offset:220 ; 4-byte Folded Spill
	s_nop 0
	buffer_store_dword v19, off, s[48:51], 0 offset:224 ; 4-byte Folded Spill
	buffer_store_dword v26, off, s[48:51], 0 offset:244 ; 4-byte Folded Spill
	s_nop 0
	buffer_store_dword v27, off, s[48:51], 0 offset:248 ; 4-byte Folded Spill
	v_mul_f64 v[32:33], v[90:91], s[28:29]
	buffer_store_dword v16, off, s[48:51], 0 offset:204 ; 4-byte Folded Spill
	s_nop 0
	buffer_store_dword v17, off, s[48:51], 0 offset:208 ; 4-byte Folded Spill
	buffer_store_dword v24, off, s[48:51], 0 offset:228 ; 4-byte Folded Spill
	s_nop 0
	buffer_store_dword v25, off, s[48:51], 0 offset:232 ; 4-byte Folded Spill
	;; [unrolled: 3-line block ×7, first 2 shown]
	v_add_f64 v[2:3], v[180:181], v[46:47]
	v_add_f64 v[4:5], v[182:183], v[44:45]
	;; [unrolled: 1-line block ×9, first 2 shown]
	v_mul_f64 v[217:218], v[88:89], s[26:27]
	v_add_f64 v[214:215], v[160:161], v[64:65]
	v_add_f64 v[225:226], v[162:163], v[66:67]
	;; [unrolled: 1-line block ×3, first 2 shown]
	v_mul_f64 v[221:222], v[184:185], s[38:39]
	v_mul_f64 v[235:236], v[188:189], s[38:39]
	s_mov_b32 s39, 0x3fefc445
	s_mov_b32 s38, s30
	;; [unrolled: 1-line block ×3, first 2 shown]
	v_mul_f64 v[253:254], v[90:91], s[36:37]
	v_mul_f64 v[227:228], v[190:191], s[24:25]
	;; [unrolled: 1-line block ×17, first 2 shown]
	v_fma_f64 v[34:35], v[251:252], s[16:17], -v[78:79]
	v_fma_f64 v[0:1], v[2:3], s[0:1], v[0:1]
	v_fma_f64 v[6:7], v[4:5], s[0:1], -v[6:7]
	v_add_f64 v[0:1], v[40:41], v[0:1]
	v_add_f64 v[6:7], v[42:43], v[6:7]
	v_fma_f64 v[8:9], v[249:250], s[4:5], v[8:9]
	v_fma_f64 v[10:11], v[251:252], s[4:5], -v[10:11]
	v_fma_f64 v[12:13], v[241:242], s[16:17], v[12:13]
	v_fma_f64 v[14:15], v[245:246], s[16:17], -v[14:15]
	v_add_f64 v[0:1], v[8:9], v[0:1]
	v_add_f64 v[6:7], v[10:11], v[6:7]
	v_fma_f64 v[8:9], v[219:220], s[18:19], v[18:19]
	v_fma_f64 v[10:11], v[223:224], s[18:19], -v[26:27]
	v_fma_f64 v[18:19], v[4:5], s[4:5], -v[217:218]
	v_mul_f64 v[26:27], v[184:185], s[36:37]
	v_add_f64 v[0:1], v[12:13], v[0:1]
	v_add_f64 v[6:7], v[14:15], v[6:7]
	v_fma_f64 v[12:13], v[208:209], s[20:21], v[16:17]
	v_fma_f64 v[16:17], v[2:3], s[4:5], v[28:29]
	v_fma_f64 v[14:15], v[210:211], s[20:21], -v[24:25]
	v_mul_f64 v[24:25], v[188:189], s[36:37]
	v_add_f64 v[18:19], v[42:43], v[18:19]
	v_mul_f64 v[28:29], v[82:83], s[30:31]
	v_add_f64 v[0:1], v[8:9], v[0:1]
	v_add_f64 v[6:7], v[10:11], v[6:7]
	v_fma_f64 v[8:9], v[214:215], s[22:23], v[20:21]
	v_fma_f64 v[10:11], v[225:226], s[22:23], -v[22:23]
	v_fma_f64 v[20:21], v[249:250], s[18:19], v[30:31]
	v_fma_f64 v[22:23], v[251:252], s[18:19], -v[32:33]
	v_add_f64 v[16:17], v[40:41], v[16:17]
	buffer_store_dword v26, off, s[48:51], 0 offset:292 ; 4-byte Folded Spill
	s_nop 0
	buffer_store_dword v27, off, s[48:51], 0 offset:296 ; 4-byte Folded Spill
	buffer_store_dword v24, off, s[48:51], 0 offset:316 ; 4-byte Folded Spill
	s_nop 0
	buffer_store_dword v25, off, s[48:51], 0 offset:320 ; 4-byte Folded Spill
	;; [unrolled: 3-line block ×3, first 2 shown]
	v_add_f64 v[12:13], v[12:13], v[0:1]
	v_add_f64 v[6:7], v[14:15], v[6:7]
	v_mul_f64 v[0:1], v[88:89], s[30:31]
	v_add_f64 v[18:19], v[22:23], v[18:19]
	v_add_f64 v[16:17], v[20:21], v[16:17]
	v_mul_f64 v[20:21], v[190:191], s[40:41]
	v_mul_f64 v[22:23], v[196:197], s[40:41]
	buffer_store_dword v20, off, s[48:51], 0 offset:308 ; 4-byte Folded Spill
	s_nop 0
	buffer_store_dword v21, off, s[48:51], 0 offset:312 ; 4-byte Folded Spill
	buffer_store_dword v22, off, s[48:51], 0 offset:340 ; 4-byte Folded Spill
	s_nop 0
	buffer_store_dword v23, off, s[48:51], 0 offset:344 ; 4-byte Folded Spill
	v_add_f64 v[92:93], v[8:9], v[12:13]
	v_add_f64 v[94:95], v[10:11], v[6:7]
	v_fma_f64 v[10:11], v[4:5], s[16:17], -v[0:1]
	v_mul_f64 v[30:31], v[88:89], s[28:29]
	v_fma_f64 v[88:89], v[251:252], s[0:1], -v[186:187]
	v_add_f64 v[10:11], v[42:43], v[10:11]
	v_fma_f64 v[14:15], v[241:242], s[22:23], v[26:27]
	v_fma_f64 v[6:7], v[245:246], s[22:23], -v[24:25]
	v_mul_f64 v[24:25], v[84:85], s[36:37]
	buffer_store_dword v24, off, s[48:51], 0 offset:356 ; 4-byte Folded Spill
	s_nop 0
	buffer_store_dword v25, off, s[48:51], 0 offset:360 ; 4-byte Folded Spill
	v_add_f64 v[12:13], v[14:15], v[16:17]
	v_fma_f64 v[8:9], v[2:3], s[16:17], v[28:29]
	v_add_f64 v[6:7], v[6:7], v[18:19]
	v_mul_f64 v[28:29], v[90:91], s[40:41]
	v_fma_f64 v[14:15], v[219:220], s[20:21], v[20:21]
	v_fma_f64 v[16:17], v[223:224], s[20:21], -v[22:23]
	v_mul_f64 v[22:23], v[198:199], s[38:39]
	buffer_store_dword v22, off, s[48:51], 0 offset:324 ; 4-byte Folded Spill
	s_nop 0
	buffer_store_dword v23, off, s[48:51], 0 offset:328 ; 4-byte Folded Spill
	v_add_f64 v[12:13], v[14:15], v[12:13]
	v_add_f64 v[8:9], v[40:41], v[8:9]
	v_fma_f64 v[20:21], v[251:252], s[22:23], -v[253:254]
	v_add_f64 v[6:7], v[16:17], v[6:7]
	v_fma_f64 v[16:17], v[219:220], s[0:1], v[227:228]
	v_add_f64 v[10:11], v[20:21], v[10:11]
	v_fma_f64 v[20:21], v[245:246], s[18:19], -v[235:236]
	v_add_f64 v[10:11], v[20:21], v[10:11]
	v_fma_f64 v[20:21], v[210:211], s[16:17], -v[229:230]
	v_add_f64 v[6:7], v[20:21], v[6:7]
	v_fma_f64 v[18:19], v[249:250], s[22:23], v[24:25]
	v_fma_f64 v[24:25], v[225:226], s[20:21], -v[247:248]
	v_add_f64 v[8:9], v[18:19], v[8:9]
	v_fma_f64 v[18:19], v[241:242], s[18:19], v[221:222]
	v_fma_f64 v[14:15], v[208:209], s[16:17], v[22:23]
	v_mul_f64 v[22:23], v[203:204], s[24:25]
	buffer_store_dword v22, off, s[48:51], 0 offset:332 ; 4-byte Folded Spill
	s_nop 0
	buffer_store_dword v23, off, s[48:51], 0 offset:336 ; 4-byte Folded Spill
	v_add_f64 v[8:9], v[18:19], v[8:9]
	v_fma_f64 v[18:19], v[223:224], s[0:1], -v[239:240]
	v_add_f64 v[12:13], v[14:15], v[12:13]
	v_mul_f64 v[14:15], v[82:83], s[28:29]
	v_fma_f64 v[82:83], v[2:3], s[22:23], v[192:193]
	s_waitcnt vmcnt(0)
	s_barrier
	v_add_f64 v[8:9], v[16:17], v[8:9]
	v_add_f64 v[10:11], v[18:19], v[10:11]
	v_fma_f64 v[16:17], v[208:209], s[4:5], v[231:232]
	v_fma_f64 v[18:19], v[210:211], s[4:5], -v[243:244]
	v_fma_f64 v[26:27], v[2:3], s[18:19], v[14:15]
	v_add_f64 v[82:83], v[40:41], v[82:83]
	v_add_f64 v[8:9], v[16:17], v[8:9]
	;; [unrolled: 1-line block ×3, first 2 shown]
	v_fma_f64 v[18:19], v[214:215], s[20:21], v[237:238]
	v_mul_f64 v[10:11], v[84:85], s[40:41]
	s_mov_b32 s41, 0x3fea55e2
	s_mov_b32 s40, s26
	v_add_f64 v[98:99], v[24:25], v[16:17]
	v_add_f64 v[96:97], v[18:19], v[8:9]
	v_fma_f64 v[8:9], v[249:250], s[20:21], v[10:11]
	v_mul_f64 v[16:17], v[184:185], s[24:25]
	v_mul_f64 v[24:25], v[196:197], s[30:31]
	v_fma_f64 v[20:21], v[214:215], s[0:1], v[22:23]
	v_fma_f64 v[22:23], v[225:226], s[0:1], -v[233:234]
	v_add_f64 v[100:101], v[20:21], v[12:13]
	v_add_f64 v[102:103], v[22:23], v[6:7]
	;; [unrolled: 1-line block ×3, first 2 shown]
	v_fma_f64 v[12:13], v[4:5], s[18:19], -v[30:31]
	v_mul_f64 v[26:27], v[188:189], s[24:25]
	v_mul_f64 v[188:189], v[188:189], s[34:35]
	v_add_f64 v[6:7], v[8:9], v[6:7]
	v_add_f64 v[8:9], v[42:43], v[12:13]
	v_fma_f64 v[12:13], v[251:252], s[20:21], -v[28:29]
	v_add_f64 v[8:9], v[12:13], v[8:9]
	v_fma_f64 v[12:13], v[241:242], s[0:1], v[16:17]
	v_add_f64 v[6:7], v[12:13], v[6:7]
	v_fma_f64 v[12:13], v[245:246], s[0:1], -v[26:27]
	v_add_f64 v[8:9], v[12:13], v[8:9]
	v_mul_f64 v[12:13], v[190:191], s[30:31]
	s_mov_b32 s31, 0x3fcea1e5
	s_mov_b32 s30, s36
	v_mul_f64 v[22:23], v[200:201], s[30:31]
	v_mul_f64 v[74:75], v[196:197], s[30:31]
	;; [unrolled: 1-line block ×3, first 2 shown]
	v_fma_f64 v[18:19], v[219:220], s[16:17], v[12:13]
	v_add_f64 v[6:7], v[18:19], v[6:7]
	v_fma_f64 v[18:19], v[223:224], s[16:17], -v[24:25]
	v_add_f64 v[18:19], v[18:19], v[8:9]
	v_mul_f64 v[8:9], v[198:199], s[30:31]
	v_fma_f64 v[20:21], v[208:209], s[22:23], v[8:9]
	v_add_f64 v[20:21], v[20:21], v[6:7]
	v_fma_f64 v[6:7], v[210:211], s[22:23], -v[22:23]
	v_add_f64 v[32:33], v[6:7], v[18:19]
	v_mul_f64 v[6:7], v[203:204], s[40:41]
	v_fma_f64 v[18:19], v[214:215], s[4:5], v[6:7]
	v_add_f64 v[104:105], v[18:19], v[20:21]
	v_mul_f64 v[18:19], v[205:206], s[40:41]
	v_fma_f64 v[20:21], v[225:226], s[4:5], -v[18:19]
	v_add_f64 v[106:107], v[20:21], v[32:33]
	v_fma_f64 v[20:21], v[2:3], s[20:21], v[68:69]
	v_fma_f64 v[32:33], v[249:250], s[16:17], v[38:39]
	v_add_f64 v[20:21], v[40:41], v[20:21]
	v_add_f64 v[20:21], v[32:33], v[20:21]
	v_fma_f64 v[32:33], v[4:5], s[20:21], -v[80:81]
	v_add_f64 v[32:33], v[42:43], v[32:33]
	v_add_f64 v[32:33], v[34:35], v[32:33]
	v_mul_f64 v[34:35], v[184:185], s[26:27]
	v_mul_f64 v[184:185], v[184:185], s[34:35]
	v_fma_f64 v[36:37], v[241:242], s[4:5], v[34:35]
	v_add_f64 v[20:21], v[36:37], v[20:21]
	v_fma_f64 v[36:37], v[245:246], s[4:5], -v[76:77]
	v_add_f64 v[36:37], v[36:37], v[32:33]
	v_mul_f64 v[32:33], v[190:191], s[30:31]
	v_fma_f64 v[70:71], v[219:220], s[22:23], v[32:33]
	v_add_f64 v[20:21], v[70:71], v[20:21]
	v_fma_f64 v[70:71], v[223:224], s[22:23], -v[74:75]
	v_add_f64 v[70:71], v[70:71], v[36:37]
	v_mul_f64 v[36:37], v[198:199], s[24:25]
	v_fma_f64 v[72:73], v[208:209], s[0:1], v[36:37]
	v_add_f64 v[86:87], v[72:73], v[20:21]
	v_mul_f64 v[72:73], v[200:201], s[24:25]
	v_fma_f64 v[20:21], v[210:211], s[0:1], -v[72:73]
	v_add_f64 v[110:111], v[20:21], v[70:71]
	v_mul_f64 v[20:21], v[203:204], s[28:29]
	v_fma_f64 v[70:71], v[214:215], s[18:19], v[20:21]
	v_add_f64 v[108:109], v[70:71], v[86:87]
	v_mul_f64 v[70:71], v[205:206], s[28:29]
	v_fma_f64 v[86:87], v[225:226], s[18:19], -v[70:71]
	v_add_f64 v[110:111], v[86:87], v[110:111]
	v_mul_f64 v[86:87], v[84:85], s[24:25]
	v_fma_f64 v[84:85], v[249:250], s[0:1], v[86:87]
	v_add_f64 v[82:83], v[84:85], v[82:83]
	v_fma_f64 v[84:85], v[4:5], s[22:23], -v[194:195]
	v_add_f64 v[84:85], v[42:43], v[84:85]
	v_add_f64 v[84:85], v[88:89], v[84:85]
	v_fma_f64 v[88:89], v[241:242], s[20:21], v[184:185]
	v_add_f64 v[82:83], v[88:89], v[82:83]
	v_fma_f64 v[88:89], v[245:246], s[20:21], -v[188:189]
	v_add_f64 v[88:89], v[88:89], v[84:85]
	v_mul_f64 v[84:85], v[190:191], s[40:41]
	v_mul_f64 v[190:191], v[198:199], s[28:29]
	;; [unrolled: 1-line block ×4, first 2 shown]
	v_fma_f64 v[90:91], v[219:220], s[4:5], v[84:85]
	v_add_f64 v[82:83], v[90:91], v[82:83]
	v_fma_f64 v[90:91], v[223:224], s[4:5], -v[196:197]
	v_add_f64 v[88:89], v[90:91], v[88:89]
	v_fma_f64 v[90:91], v[208:209], s[18:19], v[190:191]
	v_add_f64 v[90:91], v[90:91], v[82:83]
	v_fma_f64 v[82:83], v[210:211], s[18:19], -v[198:199]
	v_add_f64 v[212:213], v[82:83], v[88:89]
	v_mul_f64 v[82:83], v[203:204], s[38:39]
	v_fma_f64 v[88:89], v[214:215], s[16:17], v[82:83]
	v_add_f64 v[88:89], v[88:89], v[90:91]
	v_fma_f64 v[90:91], v[225:226], s[16:17], -v[200:201]
	v_add_f64 v[90:91], v[90:91], v[212:213]
	s_and_saveexec_b64 s[24:25], vcc
	s_cbranch_execz .LBB0_5
; %bb.4:
	v_mul_f64 v[203:204], v[225:226], s[16:17]
	v_mul_f64 v[212:213], v[241:242], s[0:1]
	;; [unrolled: 1-line block ×3, first 2 shown]
	v_add_f64 v[200:201], v[200:201], v[203:204]
	v_mul_f64 v[203:204], v[210:211], s[18:19]
	v_add_f64 v[16:17], v[212:213], -v[16:17]
	v_mul_f64 v[212:213], v[208:209], s[20:21]
	v_add_f64 v[198:199], v[198:199], v[203:204]
	v_mul_f64 v[203:204], v[223:224], s[4:5]
	v_add_f64 v[196:197], v[196:197], v[203:204]
	;; [unrolled: 2-line block ×4, first 2 shown]
	v_add_f64 v[192:193], v[203:204], -v[192:193]
	v_mul_f64 v[203:204], v[251:252], s[0:1]
	v_add_f64 v[192:193], v[40:41], v[192:193]
	v_add_f64 v[186:187], v[186:187], v[203:204]
	v_mul_f64 v[203:204], v[245:246], s[20:21]
	v_add_f64 v[186:187], v[186:187], v[194:195]
	v_add_f64 v[188:189], v[188:189], v[203:204]
	v_mul_f64 v[203:204], v[249:250], s[0:1]
	v_mul_f64 v[194:195], v[2:3], s[4:5]
	v_add_f64 v[186:187], v[188:189], v[186:187]
	v_add_f64 v[86:87], v[203:204], -v[86:87]
	v_mul_f64 v[203:204], v[208:209], s[18:19]
	v_mul_f64 v[188:189], v[214:215], s[16:17]
	v_add_f64 v[186:187], v[196:197], v[186:187]
	v_add_f64 v[86:87], v[86:87], v[192:193]
	v_mul_f64 v[192:193], v[219:220], s[4:5]
	v_add_f64 v[190:191], v[203:204], -v[190:191]
	v_mul_f64 v[203:204], v[241:242], s[20:21]
	v_add_f64 v[82:83], v[188:189], -v[82:83]
	v_mul_f64 v[188:189], v[4:5], s[0:1]
	v_mul_f64 v[196:197], v[4:5], s[16:17]
	v_add_f64 v[186:187], v[198:199], v[186:187]
	v_mul_f64 v[198:199], v[4:5], s[18:19]
	v_add_f64 v[84:85], v[192:193], -v[84:85]
	v_mul_f64 v[192:193], v[4:5], s[20:21]
	v_add_f64 v[184:185], v[203:204], -v[184:185]
	v_mul_f64 v[203:204], v[249:250], s[4:5]
	v_add_f64 v[0:1], v[0:1], v[196:197]
	v_mul_f64 v[196:197], v[214:215], s[22:23]
	v_add_f64 v[30:31], v[30:31], v[198:199]
	;; [unrolled: 2-line block ×5, first 2 shown]
	v_add_f64 v[30:31], v[42:43], v[30:31]
	v_add_f64 v[28:29], v[28:29], v[198:199]
	;; [unrolled: 1-line block ×4, first 2 shown]
	v_mul_f64 v[192:193], v[245:246], s[4:5]
	v_add_f64 v[84:85], v[84:85], v[86:87]
	v_add_f64 v[74:75], v[74:75], v[184:185]
	v_mul_f64 v[184:185], v[210:211], s[0:1]
	v_mul_f64 v[86:87], v[2:3], s[16:17]
	v_add_f64 v[28:29], v[28:29], v[30:31]
	v_mul_f64 v[30:31], v[241:242], s[18:19]
	v_add_f64 v[78:79], v[78:79], v[80:81]
	v_add_f64 v[76:77], v[76:77], v[192:193]
	;; [unrolled: 1-line block ×3, first 2 shown]
	v_mul_f64 v[192:193], v[2:3], s[0:1]
	v_mul_f64 v[190:191], v[2:3], s[20:21]
	v_add_f64 v[72:73], v[72:73], v[184:185]
	v_mul_f64 v[80:81], v[4:5], s[4:5]
	v_add_f64 v[4:5], v[200:201], v[186:187]
	;; [unrolled: 2-line block ×4, first 2 shown]
	v_mul_f64 v[82:83], v[249:250], s[16:17]
	v_add_f64 v[68:69], v[190:191], -v[68:69]
	v_mul_f64 v[184:185], v[225:226], s[18:19]
	v_mul_f64 v[190:191], v[251:252], s[22:23]
	v_add_f64 v[10:11], v[200:201], -v[10:11]
	v_add_f64 v[74:75], v[74:75], v[76:77]
	v_add_f64 v[14:15], v[78:79], -v[14:15]
	v_mul_f64 v[78:79], v[219:220], s[18:19]
	v_add_f64 v[38:39], v[82:83], -v[38:39]
	v_mul_f64 v[82:83], v[208:209], s[0:1]
	v_add_f64 v[68:69], v[40:41], v[68:69]
	v_mul_f64 v[200:201], v[225:226], s[4:5]
	v_add_f64 v[70:71], v[70:71], v[184:185]
	v_add_f64 v[72:73], v[72:73], v[74:75]
	v_mul_f64 v[74:75], v[241:242], s[4:5]
	v_add_f64 v[14:15], v[40:41], v[14:15]
	v_mul_f64 v[186:187], v[251:252], s[18:19]
	v_add_f64 v[36:37], v[82:83], -v[36:37]
	v_mul_f64 v[82:83], v[245:246], s[0:1]
	v_add_f64 v[38:39], v[38:39], v[68:69]
	v_add_f64 v[18:19], v[18:19], v[200:201]
	v_mul_f64 v[200:201], v[208:209], s[16:17]
	v_add_f64 v[34:35], v[74:75], -v[34:35]
	v_mul_f64 v[74:75], v[219:220], s[22:23]
	v_add_f64 v[10:11], v[10:11], v[14:15]
	v_mul_f64 v[184:185], v[249:250], s[22:23]
	v_add_f64 v[26:27], v[26:27], v[82:83]
	v_mul_f64 v[82:83], v[245:246], s[22:23]
	v_mul_f64 v[14:15], v[210:211], s[20:21]
	v_add_f64 v[30:31], v[30:31], -v[221:222]
	v_add_f64 v[34:35], v[34:35], v[38:39]
	v_add_f64 v[32:33], v[74:75], -v[32:33]
	v_mul_f64 v[74:75], v[223:224], s[16:17]
	v_add_f64 v[10:11], v[16:17], v[10:11]
	v_add_f64 v[26:27], v[26:27], v[28:29]
	v_mul_f64 v[16:17], v[208:209], s[4:5]
	v_mul_f64 v[207:208], v[208:209], s[22:23]
	v_mul_f64 v[28:29], v[223:224], s[18:19]
	v_mul_f64 v[84:85], v[249:250], s[18:19]
	v_add_f64 v[32:33], v[32:33], v[34:35]
	v_add_f64 v[24:25], v[24:25], v[74:75]
	v_mul_f64 v[74:75], v[210:211], s[22:23]
	v_mul_f64 v[34:35], v[219:220], s[20:21]
	;; [unrolled: 1-line block ×6, first 2 shown]
	v_add_f64 v[32:33], v[36:37], v[32:33]
	v_add_f64 v[24:25], v[24:25], v[26:27]
	;; [unrolled: 1-line block ×3, first 2 shown]
	v_mul_f64 v[26:27], v[219:220], s[0:1]
	v_mul_f64 v[219:220], v[219:220], s[16:17]
	v_add_f64 v[36:37], v[207:208], -v[8:9]
	v_add_f64 v[8:9], v[70:71], v[72:73]
	v_add_f64 v[72:73], v[40:41], v[180:181]
	v_mul_f64 v[74:75], v[223:224], s[20:21]
	v_mul_f64 v[223:224], v[223:224], s[0:1]
	v_add_f64 v[22:23], v[22:23], v[24:25]
	v_add_f64 v[70:71], v[42:43], v[182:183]
	v_add_f64 v[12:13], v[219:220], -v[12:13]
	v_mul_f64 v[219:220], v[210:211], s[16:17]
	v_mul_f64 v[209:210], v[210:211], s[4:5]
	v_add_f64 v[72:73], v[72:73], v[176:177]
	v_mul_f64 v[24:25], v[214:215], s[18:19]
	v_mul_f64 v[245:246], v[225:226], s[0:1]
	v_add_f64 v[26:27], v[26:27], -v[227:228]
	v_add_f64 v[70:71], v[70:71], v[178:179]
	v_add_f64 v[10:11], v[12:13], v[10:11]
	;; [unrolled: 1-line block ×5, first 2 shown]
	buffer_load_dword v80, off, s[48:51], 0 offset:348 ; 4-byte Folded Reload
	buffer_load_dword v81, off, s[48:51], 0 offset:352 ; 4-byte Folded Reload
	v_add_f64 v[241:242], v[24:25], -v[20:21]
	v_mul_f64 v[24:25], v[214:215], s[0:1]
	v_mul_f64 v[20:21], v[225:226], s[22:23]
	v_add_f64 v[10:11], v[36:37], v[10:11]
	v_add_f64 v[36:37], v[235:236], v[205:206]
	v_add_f64 v[0:1], v[18:19], v[0:1]
	buffer_load_dword v18, off, s[48:51], 0 offset:300 ; 4-byte Folded Reload
	buffer_load_dword v19, off, s[48:51], 0 offset:304 ; 4-byte Folded Reload
	;; [unrolled: 1-line block ×4, first 2 shown]
	v_add_f64 v[22:23], v[42:43], v[22:23]
	v_mul_f64 v[225:226], v[225:226], s[20:21]
	v_add_f64 v[16:17], v[16:17], -v[231:232]
	v_mul_f64 v[207:208], v[214:215], s[4:5]
	v_mul_f64 v[214:215], v[214:215], s[20:21]
	v_add_f64 v[0:1], v[36:37], v[0:1]
	buffer_load_dword v36, off, s[48:51], 0 offset:316 ; 4-byte Folded Reload
	buffer_load_dword v37, off, s[48:51], 0 offset:320 ; 4-byte Folded Reload
	v_add_f64 v[6:7], v[207:208], -v[6:7]
	v_add_f64 v[10:11], v[6:7], v[10:11]
	v_add_f64 v[6:7], v[241:242], v[32:33]
	s_waitcnt vmcnt(6)
	v_add_f64 v[80:81], v[86:87], -v[80:81]
	v_add_f64 v[86:87], v[239:240], v[223:224]
	s_waitcnt vmcnt(4)
	v_add_f64 v[18:19], v[18:19], v[186:187]
	s_waitcnt vmcnt(2)
	v_add_f64 v[176:177], v[184:185], -v[176:177]
	v_add_f64 v[80:81], v[40:41], v[80:81]
	v_add_f64 v[0:1], v[86:87], v[0:1]
	s_waitcnt vmcnt(0)
	v_add_f64 v[36:37], v[36:37], v[82:83]
	buffer_load_dword v82, off, s[48:51], 0 offset:340 ; 4-byte Folded Reload
	buffer_load_dword v83, off, s[48:51], 0 offset:344 ; 4-byte Folded Reload
	v_add_f64 v[18:19], v[18:19], v[22:23]
	v_add_f64 v[22:23], v[70:71], v[174:175]
	;; [unrolled: 1-line block ×11, first 2 shown]
	buffer_load_dword v80, off, s[48:51], 0 offset:188 ; 4-byte Folded Reload
	buffer_load_dword v81, off, s[48:51], 0 offset:192 ; 4-byte Folded Reload
	v_add_f64 v[70:71], v[247:248], v[225:226]
	v_add_f64 v[22:23], v[22:23], v[166:167]
	;; [unrolled: 1-line block ×17, first 2 shown]
	s_waitcnt vmcnt(2)
	v_add_f64 v[74:75], v[82:83], v[74:75]
	v_add_f64 v[18:19], v[74:75], v[18:19]
	v_add_f64 v[74:75], v[214:215], -v[237:238]
	s_waitcnt vmcnt(0)
	v_add_f64 v[80:81], v[80:81], v[188:189]
	v_add_f64 v[18:19], v[72:73], v[18:19]
	buffer_load_dword v72, off, s[48:51], 0 offset:180 ; 4-byte Folded Reload
	buffer_load_dword v73, off, s[48:51], 0 offset:184 ; 4-byte Folded Reload
	;; [unrolled: 1-line block ×6, first 2 shown]
	v_add_f64 v[42:43], v[42:43], v[80:81]
	s_waitcnt vmcnt(4)
	v_add_f64 v[72:73], v[192:193], -v[72:73]
	s_waitcnt vmcnt(2)
	v_add_f64 v[82:83], v[194:195], -v[82:83]
	;; [unrolled: 2-line block ×3, first 2 shown]
	buffer_load_dword v86, off, s[48:51], 0 offset:268 ; 4-byte Folded Reload
	buffer_load_dword v87, off, s[48:51], 0 offset:272 ; 4-byte Folded Reload
	;; [unrolled: 1-line block ×6, first 2 shown]
	v_add_f64 v[64:65], v[40:41], v[72:73]
	v_add_f64 v[40:41], v[40:41], v[82:83]
	;; [unrolled: 1-line block ×3, first 2 shown]
	s_waitcnt vmcnt(4)
	v_add_f64 v[76:77], v[86:87], v[76:77]
	s_waitcnt vmcnt(2)
	v_add_f64 v[80:81], v[203:204], -v[80:81]
	s_waitcnt vmcnt(0)
	v_add_f64 v[38:39], v[38:39], -v[66:67]
	buffer_load_dword v66, off, s[48:51], 0 offset:260 ; 4-byte Folded Reload
	buffer_load_dword v67, off, s[48:51], 0 offset:264 ; 4-byte Folded Reload
	buffer_load_dword v72, off, s[48:51], 0 offset:236 ; 4-byte Folded Reload
	buffer_load_dword v73, off, s[48:51], 0 offset:240 ; 4-byte Folded Reload
	buffer_load_dword v62, off, s[48:51], 0 offset:308 ; 4-byte Folded Reload
	buffer_load_dword v63, off, s[48:51], 0 offset:312 ; 4-byte Folded Reload
	v_add_f64 v[42:43], v[76:77], v[42:43]
	v_add_f64 v[60:61], v[80:81], v[64:65]
	v_add_f64 v[38:39], v[38:39], v[40:41]
	s_waitcnt vmcnt(4)
	v_add_f64 v[66:67], v[66:67], v[198:199]
	s_waitcnt vmcnt(2)
	v_add_f64 v[68:69], v[68:69], -v[72:73]
	s_waitcnt vmcnt(0)
	v_add_f64 v[34:35], v[34:35], -v[62:63]
	buffer_load_dword v62, off, s[48:51], 0 offset:244 ; 4-byte Folded Reload
	buffer_load_dword v63, off, s[48:51], 0 offset:248 ; 4-byte Folded Reload
	v_add_f64 v[42:43], v[66:67], v[42:43]
	v_add_f64 v[56:57], v[68:69], v[60:61]
	;; [unrolled: 1-line block ×3, first 2 shown]
	s_waitcnt vmcnt(0)
	v_add_f64 v[28:29], v[62:63], v[28:29]
	buffer_load_dword v62, off, s[48:51], 0 offset:220 ; 4-byte Folded Reload
	buffer_load_dword v63, off, s[48:51], 0 offset:224 ; 4-byte Folded Reload
	buffer_load_dword v40, off, s[48:51], 0 offset:324 ; 4-byte Folded Reload
	buffer_load_dword v41, off, s[48:51], 0 offset:328 ; 4-byte Folded Reload
	buffer_load_dword v58, off, s[48:51], 0 offset:228 ; 4-byte Folded Reload
	buffer_load_dword v59, off, s[48:51], 0 offset:232 ; 4-byte Folded Reload
	v_add_f64 v[28:29], v[28:29], v[42:43]
	buffer_load_dword v42, off, s[48:51], 0 offset:204 ; 4-byte Folded Reload
	buffer_load_dword v43, off, s[48:51], 0 offset:208 ; 4-byte Folded Reload
	;; [unrolled: 1-line block ×4, first 2 shown]
	s_waitcnt vmcnt(8)
	v_add_f64 v[62:63], v[78:79], -v[62:63]
	s_waitcnt vmcnt(6)
	v_add_f64 v[40:41], v[200:201], -v[40:41]
	s_waitcnt vmcnt(4)
	v_add_f64 v[14:15], v[58:59], v[14:15]
	s_waitcnt vmcnt(2)
	v_add_f64 v[42:43], v[212:213], -v[42:43]
	s_waitcnt vmcnt(0)
	v_add_f64 v[38:39], v[24:25], -v[38:39]
	buffer_load_dword v24, off, s[48:51], 0 offset:212 ; 4-byte Folded Reload
	buffer_load_dword v25, off, s[48:51], 0 offset:216 ; 4-byte Folded Reload
	v_add_f64 v[34:35], v[40:41], v[34:35]
	v_add_f64 v[40:41], v[16:17], v[26:27]
	;; [unrolled: 1-line block ×8, first 2 shown]
	s_waitcnt vmcnt(0)
	v_add_f64 v[24:25], v[24:25], v[20:21]
	buffer_load_dword v20, off, s[48:51], 0 offset:196 ; 4-byte Folded Reload
	buffer_load_dword v21, off, s[48:51], 0 offset:200 ; 4-byte Folded Reload
	;; [unrolled: 1-line block ×4, first 2 shown]
	v_add_f64 v[24:25], v[24:25], v[14:15]
	v_add_f64 v[14:15], v[74:75], v[40:41]
	s_waitcnt vmcnt(2)
	v_add_f64 v[54:55], v[196:197], -v[20:21]
	v_add_f64 v[20:21], v[30:31], v[18:19]
	v_add_f64 v[18:19], v[38:39], v[34:35]
	s_waitcnt vmcnt(1)
	v_mul_u32_u24_e32 v0, 0x82, v0
	s_waitcnt vmcnt(0)
	v_add_lshl_u32 v0, v0, v1, 4
	v_add_f64 v[22:23], v[54:55], v[42:43]
	ds_write_b128 v0, v[26:29]
	ds_write_b128 v0, v[22:25] offset:160
	ds_write_b128 v0, v[18:21] offset:320
	;; [unrolled: 1-line block ×12, first 2 shown]
.LBB0_5:
	s_or_b64 exec, exec, s[24:25]
	s_waitcnt lgkmcnt(0)
	s_barrier
	ds_read_b128 v[160:163], v255
	ds_read_b128 v[188:191], v255 offset:4160
	ds_read_b128 v[184:187], v255 offset:8320
	;; [unrolled: 1-line block ×6, first 2 shown]
	buffer_load_dword v0, off, s[48:51], 0  ; 4-byte Folded Reload
	s_movk_i32 s0, 0x4e
                                        ; implicit-def: $vgpr164_vgpr165
	s_waitcnt vmcnt(0)
	v_cmp_gt_u16_e64 s[0:1], s0, v0
	s_and_saveexec_b64 s[4:5], s[0:1]
	s_cbranch_execz .LBB0_7
; %bb.6:
	ds_read_b128 v[88:91], v255 offset:2912
	ds_read_b128 v[108:111], v255 offset:7072
	ds_read_b128 v[104:107], v255 offset:11232
	ds_read_b128 v[96:99], v255 offset:15392
	ds_read_b128 v[100:103], v255 offset:19552
	ds_read_b128 v[92:95], v255 offset:23712
	ds_read_b128 v[164:167], v255 offset:27872
.LBB0_7:
	s_or_b64 exec, exec, s[4:5]
	buffer_load_dword v204, off, s[48:51], 0 ; 4-byte Folded Reload
	s_movk_i32 s4, 0x82
	v_mov_b32_e32 v3, s15
	s_mov_b32 s16, 0x37e14327
	s_mov_b32 s20, 0xe976ee23
	;; [unrolled: 1-line block ×18, first 2 shown]
	s_waitcnt vmcnt(0)
	v_add_u32_e32 v0, 0xffffff7e, v204
	v_cmp_gt_u16_e64 s[4:5], s4, v204
	v_cndmask_b32_e64 v16, v0, v204, s[4:5]
	v_mul_i32_i24_e32 v0, 0x60, v16
	v_mul_hi_i32_i24_e32 v1, 0x60, v16
	v_add_co_u32_e64 v0, s[4:5], s14, v0
	v_addc_co_u32_e64 v1, s[4:5], v3, v1, s[4:5]
	global_load_dwordx4 v[64:67], v[0:1], off offset:1968
	global_load_dwordx4 v[68:71], v[0:1], off offset:1952
	;; [unrolled: 1-line block ×6, first 2 shown]
	v_add_u32_e32 v2, 0xb6, v204
	s_movk_i32 s4, 0xfc1
	v_mul_u32_u24_sdwa v0, v2, s4 dst_sel:DWORD dst_unused:UNUSED_PAD src0_sel:WORD_0 src1_sel:DWORD
	v_lshrrev_b32_e32 v0, 19, v0
	v_mul_lo_u16_e32 v0, 0x82, v0
	v_sub_u16_e32 v203, v2, v0
	v_mul_lo_u16_e32 v0, 0x60, v203
	v_add_co_u32_e64 v0, s[4:5], s14, v0
	v_addc_co_u32_e64 v1, s[4:5], 0, v3, s[4:5]
	global_load_dwordx4 v[48:51], v[0:1], off offset:1920
	global_load_dwordx4 v[52:55], v[0:1], off offset:1936
	;; [unrolled: 1-line block ×6, first 2 shown]
	s_mov_b32 s4, 0x36b3c0b5
	s_mov_b32 s5, 0x3fac98ee
	s_waitcnt vmcnt(0) lgkmcnt(0)
	s_barrier
	v_mul_f64 v[12:13], v[178:179], v[66:67]
	v_mul_f64 v[8:9], v[182:183], v[70:71]
	;; [unrolled: 1-line block ×14, first 2 shown]
	v_fma_f64 v[0:1], v[188:189], v[76:77], -v[0:1]
	v_fma_f64 v[2:3], v[190:191], v[76:77], v[2:3]
	v_fma_f64 v[4:5], v[184:185], v[72:73], -v[4:5]
	v_fma_f64 v[6:7], v[186:187], v[72:73], v[6:7]
	;; [unrolled: 2-line block ×7, first 2 shown]
	v_add_f64 v[25:26], v[0:1], v[21:22]
	v_add_f64 v[27:28], v[2:3], v[23:24]
	v_add_f64 v[0:1], v[0:1], -v[21:22]
	v_add_f64 v[2:3], v[2:3], -v[23:24]
	v_add_f64 v[21:22], v[4:5], v[17:18]
	v_add_f64 v[23:24], v[6:7], v[19:20]
	v_mul_f64 v[29:30], v[106:107], v[54:55]
	v_mul_f64 v[31:32], v[104:105], v[54:55]
	;; [unrolled: 1-line block ×6, first 2 shown]
	v_add_f64 v[4:5], v[4:5], -v[17:18]
	v_add_f64 v[6:7], v[6:7], -v[19:20]
	v_add_f64 v[17:18], v[8:9], v[12:13]
	v_add_f64 v[19:20], v[10:11], v[14:15]
	v_add_f64 v[8:9], v[12:13], -v[8:9]
	v_add_f64 v[10:11], v[14:15], -v[10:11]
	v_add_f64 v[12:13], v[21:22], v[25:26]
	v_add_f64 v[14:15], v[23:24], v[27:28]
	v_mul_f64 v[192:193], v[100:101], v[42:43]
	v_mul_f64 v[196:197], v[92:93], v[62:63]
	v_fma_f64 v[104:105], v[104:105], v[52:53], -v[29:30]
	v_fma_f64 v[106:107], v[106:107], v[52:53], v[31:32]
	v_fma_f64 v[168:169], v[96:97], v[44:45], -v[33:34]
	v_fma_f64 v[170:171], v[98:99], v[44:45], v[35:36]
	v_fma_f64 v[100:101], v[100:101], v[40:41], -v[37:38]
	v_fma_f64 v[172:173], v[92:93], v[60:61], -v[194:195]
	v_add_f64 v[29:30], v[21:22], -v[25:26]
	v_add_f64 v[31:32], v[23:24], -v[27:28]
	;; [unrolled: 1-line block ×6, first 2 shown]
	v_add_f64 v[33:34], v[8:9], v[4:5]
	v_add_f64 v[35:36], v[10:11], v[6:7]
	v_add_f64 v[37:38], v[8:9], -v[4:5]
	v_add_f64 v[92:93], v[10:11], -v[6:7]
	v_add_f64 v[12:13], v[17:18], v[12:13]
	v_add_f64 v[14:15], v[19:20], v[14:15]
	v_add_f64 v[4:5], v[4:5], -v[0:1]
	v_add_f64 v[6:7], v[6:7], -v[2:3]
	v_fma_f64 v[174:175], v[94:95], v[60:61], v[196:197]
	v_add_f64 v[8:9], v[0:1], -v[8:9]
	v_add_f64 v[10:11], v[2:3], -v[10:11]
	v_add_f64 v[0:1], v[33:34], v[0:1]
	v_add_f64 v[2:3], v[35:36], v[2:3]
	v_mul_f64 v[25:26], v[25:26], s[16:17]
	v_mul_f64 v[27:28], v[27:28], s[16:17]
	v_add_f64 v[17:18], v[160:161], v[12:13]
	v_add_f64 v[19:20], v[162:163], v[14:15]
	v_mul_f64 v[33:34], v[21:22], s[4:5]
	v_mul_f64 v[35:36], v[23:24], s[4:5]
	;; [unrolled: 1-line block ×8, first 2 shown]
	v_fma_f64 v[12:13], v[12:13], s[22:23], v[17:18]
	v_fma_f64 v[14:15], v[14:15], s[22:23], v[19:20]
	;; [unrolled: 1-line block ×4, first 2 shown]
	v_fma_f64 v[33:34], v[29:30], s[24:25], -v[33:34]
	v_fma_f64 v[35:36], v[31:32], s[24:25], -v[35:36]
	v_fma_f64 v[25:26], v[29:30], s[26:27], -v[25:26]
	v_fma_f64 v[27:28], v[31:32], s[26:27], -v[27:28]
	v_fma_f64 v[29:30], v[8:9], s[30:31], v[37:38]
	v_fma_f64 v[31:32], v[10:11], s[30:31], v[92:93]
	v_fma_f64 v[4:5], v[4:5], s[18:19], -v[37:38]
	v_fma_f64 v[6:7], v[6:7], s[18:19], -v[92:93]
	;; [unrolled: 1-line block ×4, first 2 shown]
	v_add_f64 v[21:22], v[21:22], v[12:13]
	v_add_f64 v[98:99], v[23:24], v[14:15]
	;; [unrolled: 1-line block ×6, first 2 shown]
	v_fma_f64 v[96:97], v[2:3], s[28:29], v[31:32]
	v_fma_f64 v[160:161], v[0:1], s[28:29], v[29:30]
	;; [unrolled: 1-line block ×6, first 2 shown]
	v_fma_f64 v[4:5], v[164:165], v[56:57], -v[198:199]
	v_fma_f64 v[6:7], v[166:167], v[56:57], v[200:201]
	v_fma_f64 v[102:103], v[102:103], v[40:41], v[192:193]
	v_add_f64 v[24:25], v[96:97], v[21:22]
	v_add_f64 v[28:29], v[10:11], v[12:13]
	v_add_f64 v[30:31], v[14:15], -v[8:9]
	v_add_f64 v[32:33], v[37:38], -v[2:3]
	v_add_f64 v[34:35], v[0:1], v[92:93]
	v_add_f64 v[36:37], v[2:3], v[37:38]
	v_add_f64 v[38:39], v[92:93], -v[0:1]
	v_add_f64 v[92:93], v[12:13], -v[10:11]
	v_add_f64 v[94:95], v[8:9], v[14:15]
	v_add_f64 v[0:1], v[108:109], v[4:5]
	;; [unrolled: 1-line block ×5, first 2 shown]
	v_add_f64 v[96:97], v[21:22], -v[96:97]
	v_add_f64 v[4:5], v[108:109], -v[4:5]
	;; [unrolled: 1-line block ×5, first 2 shown]
	v_add_f64 v[21:22], v[168:169], v[100:101]
	v_add_f64 v[104:105], v[170:171], v[102:103]
	v_add_f64 v[100:101], v[100:101], -v[168:169]
	v_add_f64 v[102:103], v[102:103], -v[170:171]
	v_add_f64 v[106:107], v[8:9], v[0:1]
	v_add_f64 v[108:109], v[10:11], v[2:3]
	v_add_f64 v[26:27], v[98:99], -v[160:161]
	v_add_f64 v[98:99], v[160:161], v[98:99]
	v_add_f64 v[110:111], v[8:9], -v[0:1]
	v_add_f64 v[160:161], v[10:11], -v[2:3]
	;; [unrolled: 1-line block ×6, first 2 shown]
	v_add_f64 v[162:163], v[100:101], v[12:13]
	v_add_f64 v[164:165], v[102:103], v[14:15]
	v_add_f64 v[166:167], v[100:101], -v[12:13]
	v_add_f64 v[168:169], v[102:103], -v[14:15]
	v_add_f64 v[21:22], v[21:22], v[106:107]
	v_add_f64 v[104:105], v[104:105], v[108:109]
	v_add_f64 v[12:13], v[12:13], -v[4:5]
	v_add_f64 v[14:15], v[14:15], -v[6:7]
	;; [unrolled: 1-line block ×4, first 2 shown]
	v_add_f64 v[106:107], v[162:163], v[4:5]
	v_add_f64 v[108:109], v[164:165], v[6:7]
	;; [unrolled: 1-line block ×4, first 2 shown]
	v_mul_f64 v[0:1], v[0:1], s[16:17]
	v_mul_f64 v[2:3], v[2:3], s[16:17]
	;; [unrolled: 1-line block ×8, first 2 shown]
	v_fma_f64 v[21:22], v[21:22], s[22:23], v[88:89]
	v_fma_f64 v[104:105], v[104:105], s[22:23], v[90:91]
	;; [unrolled: 1-line block ×4, first 2 shown]
	v_fma_f64 v[4:5], v[110:111], s[24:25], -v[4:5]
	v_fma_f64 v[6:7], v[160:161], s[24:25], -v[6:7]
	;; [unrolled: 1-line block ×4, first 2 shown]
	v_fma_f64 v[170:171], v[100:101], s[30:31], v[162:163]
	v_fma_f64 v[172:173], v[102:103], s[30:31], v[164:165]
	v_fma_f64 v[14:15], v[14:15], s[18:19], -v[164:165]
	v_fma_f64 v[12:13], v[12:13], s[18:19], -v[162:163]
	;; [unrolled: 1-line block ×4, first 2 shown]
	v_add_f64 v[0:1], v[8:9], v[21:22]
	v_add_f64 v[2:3], v[10:11], v[104:105]
	;; [unrolled: 1-line block ×4, first 2 shown]
	v_fma_f64 v[168:169], v[108:109], s[28:29], v[14:15]
	v_fma_f64 v[176:177], v[106:107], s[28:29], v[12:13]
	v_add_f64 v[4:5], v[110:111], v[21:22]
	v_add_f64 v[12:13], v[160:161], v[104:105]
	v_fma_f64 v[6:7], v[108:109], s[28:29], v[102:103]
	v_fma_f64 v[14:15], v[106:107], s[28:29], v[100:101]
	;; [unrolled: 1-line block ×4, first 2 shown]
	v_add_f64 v[164:165], v[162:163], -v[168:169]
	v_add_f64 v[166:167], v[176:177], v[174:175]
	v_add_f64 v[168:169], v[168:169], v[162:163]
	v_add_f64 v[170:171], v[174:175], -v[176:177]
	v_add_f64 v[160:161], v[4:5], -v[6:7]
	v_add_f64 v[162:163], v[14:15], v[12:13]
	v_add_f64 v[108:109], v[0:1], -v[8:9]
	v_add_f64 v[110:111], v[10:11], v[2:3]
	s_movk_i32 s4, 0x81
	v_mov_b32_e32 v21, 0x38e
	v_cmp_lt_u16_e64 s[4:5], s4, v204
	v_cndmask_b32_e64 v21, 0, v21, s[4:5]
	v_add_lshl_u32 v23, v16, v21, 4
	v_lshlrev_b32_e32 v22, 4, v203
	ds_write_b128 v23, v[17:20]
	ds_write_b128 v23, v[24:27] offset:2080
	ds_write_b128 v23, v[28:31] offset:4160
	;; [unrolled: 1-line block ×6, first 2 shown]
	s_and_saveexec_b64 s[4:5], s[0:1]
	s_cbranch_execz .LBB0_9
; %bb.8:
	v_add_f64 v[2:3], v[2:3], -v[10:11]
	v_add_f64 v[0:1], v[8:9], v[0:1]
	v_add_f64 v[12:13], v[12:13], -v[14:15]
	v_add_f64 v[10:11], v[6:7], v[4:5]
	ds_write_b128 v22, v[88:91] offset:14560
	ds_write_b128 v22, v[164:167] offset:20800
	;; [unrolled: 1-line block ×7, first 2 shown]
.LBB0_9:
	s_or_b64 exec, exec, s[4:5]
	v_mov_b32_e32 v0, s13
	v_addc_co_u32_e64 v0, s[2:3], 0, v0, s[2:3]
	v_add_co_u32_e64 v21, s[2:3], s14, v255
	v_mov_b32_e32 v88, s15
	v_addc_co_u32_e64 v104, s[2:3], 0, v88, s[2:3]
	s_movk_i32 s2, 0x3000
	v_add_co_u32_e64 v88, s[2:3], s2, v21
	v_addc_co_u32_e64 v89, s[2:3], 0, v104, s[2:3]
	s_waitcnt lgkmcnt(0)
	s_barrier
	ds_read_b128 v[1:4], v255
	ds_read_b128 v[5:8], v255 offset:14560
	ds_read_b128 v[9:12], v255 offset:2912
	;; [unrolled: 1-line block ×9, first 2 shown]
	global_load_dwordx4 v[88:91], v[88:89], off offset:2112
	s_movk_i32 s2, 0x4000
	s_mov_b32 s16, 0x134454ff
	s_mov_b32 s17, 0xbfee6f0e
	;; [unrolled: 1-line block ×10, first 2 shown]
	s_waitcnt vmcnt(0) lgkmcnt(8)
	v_mul_f64 v[92:93], v[7:8], v[90:91]
	v_fma_f64 v[176:177], v[5:6], v[88:89], -v[92:93]
	v_mul_f64 v[5:6], v[5:6], v[90:91]
	v_fma_f64 v[7:8], v[7:8], v[88:89], v[5:6]
	v_add_co_u32_e64 v5, s[2:3], s2, v21
	v_addc_co_u32_e64 v6, s[2:3], 0, v104, s[2:3]
	global_load_dwordx4 v[96:99], v[5:6], off offset:928
	s_movk_i32 s2, 0x5000
	v_add_f64 v[7:8], v[3:4], -v[7:8]
	v_fma_f64 v[3:4], v[3:4], 2.0, -v[7:8]
	s_waitcnt vmcnt(0) lgkmcnt(6)
	v_mul_f64 v[92:93], v[15:16], v[98:99]
	v_fma_f64 v[178:179], v[13:14], v[96:97], -v[92:93]
	global_load_dwordx4 v[92:95], v[5:6], off offset:3840
	v_mul_f64 v[13:14], v[13:14], v[98:99]
	v_fma_f64 v[15:16], v[15:16], v[96:97], v[13:14]
	v_add_f64 v[13:14], v[9:10], -v[178:179]
	v_add_f64 v[15:16], v[11:12], -v[15:16]
	v_fma_f64 v[9:10], v[9:10], 2.0, -v[13:14]
	v_fma_f64 v[11:12], v[11:12], 2.0, -v[15:16]
	s_waitcnt vmcnt(0) lgkmcnt(4)
	v_mul_f64 v[5:6], v[26:27], v[94:95]
	v_fma_f64 v[180:181], v[24:25], v[92:93], -v[5:6]
	v_mul_f64 v[5:6], v[24:25], v[94:95]
	v_add_f64 v[24:25], v[17:18], -v[180:181]
	v_fma_f64 v[26:27], v[26:27], v[92:93], v[5:6]
	v_add_co_u32_e64 v5, s[2:3], s2, v21
	v_addc_co_u32_e64 v6, s[2:3], 0, v104, s[2:3]
	global_load_dwordx4 v[100:103], v[5:6], off offset:2656
	s_movk_i32 s2, 0x6000
	v_fma_f64 v[17:18], v[17:18], 2.0, -v[24:25]
	v_add_f64 v[26:27], v[19:20], -v[26:27]
	v_fma_f64 v[19:20], v[19:20], 2.0, -v[26:27]
	s_waitcnt vmcnt(0) lgkmcnt(2)
	v_mul_f64 v[5:6], v[34:35], v[102:103]
	v_fma_f64 v[182:183], v[32:33], v[100:101], -v[5:6]
	v_mul_f64 v[5:6], v[32:33], v[102:103]
	v_add_f64 v[32:33], v[28:29], -v[182:183]
	v_fma_f64 v[34:35], v[34:35], v[100:101], v[5:6]
	v_add_co_u32_e64 v5, s[2:3], s2, v21
	v_addc_co_u32_e64 v6, s[2:3], 0, v104, s[2:3]
	global_load_dwordx4 v[104:107], v[5:6], off offset:1472
	s_movk_i32 s2, 0x71c0
	v_fma_f64 v[28:29], v[28:29], 2.0, -v[32:33]
	v_add_f64 v[34:35], v[30:31], -v[34:35]
	v_fma_f64 v[30:31], v[30:31], 2.0, -v[34:35]
	s_waitcnt vmcnt(0) lgkmcnt(0)
	v_mul_f64 v[5:6], v[174:175], v[106:107]
	v_fma_f64 v[184:185], v[172:173], v[104:105], -v[5:6]
	v_mul_f64 v[5:6], v[172:173], v[106:107]
	v_add_f64 v[172:173], v[36:37], -v[184:185]
	v_fma_f64 v[174:175], v[174:175], v[104:105], v[5:6]
	v_add_f64 v[5:6], v[1:2], -v[176:177]
	v_fma_f64 v[36:37], v[36:37], 2.0, -v[172:173]
	v_add_f64 v[174:175], v[38:39], -v[174:175]
	v_fma_f64 v[1:2], v[1:2], 2.0, -v[5:6]
	v_fma_f64 v[38:39], v[38:39], 2.0, -v[174:175]
	ds_write_b128 v255, v[1:4]
	ds_write_b128 v255, v[5:8] offset:14560
	ds_write_b128 v255, v[9:12] offset:2912
	;; [unrolled: 1-line block ×9, first 2 shown]
	v_add_co_u32_e64 v13, s[2:3], s2, v202
	v_addc_co_u32_e64 v14, s[2:3], 0, v0, s[2:3]
	s_movk_i32 s2, 0x7000
	v_add_co_u32_e64 v5, s[2:3], s2, v202
	v_addc_co_u32_e64 v6, s[2:3], 0, v0, s[2:3]
	s_waitcnt lgkmcnt(0)
	s_barrier
	global_load_dwordx4 v[5:8], v[5:6], off offset:448
	ds_read_b128 v[1:4], v255
	s_mov_b32 s2, 0x8000
	s_waitcnt vmcnt(0) lgkmcnt(0)
	v_mul_f64 v[9:10], v[3:4], v[7:8]
	v_fma_f64 v[9:10], v[1:2], v[5:6], -v[9:10]
	v_mul_f64 v[1:2], v[1:2], v[7:8]
	v_fma_f64 v[11:12], v[3:4], v[5:6], v[1:2]
	global_load_dwordx4 v[5:8], v[13:14], off offset:2912
	ds_read_b128 v[1:4], v255 offset:2912
	ds_write_b128 v255, v[9:12]
	s_waitcnt vmcnt(0) lgkmcnt(1)
	v_mul_f64 v[9:10], v[3:4], v[7:8]
	v_fma_f64 v[9:10], v[1:2], v[5:6], -v[9:10]
	v_mul_f64 v[1:2], v[1:2], v[7:8]
	v_fma_f64 v[11:12], v[3:4], v[5:6], v[1:2]
	v_add_co_u32_e64 v5, s[2:3], s2, v202
	v_addc_co_u32_e64 v6, s[2:3], 0, v0, s[2:3]
	global_load_dwordx4 v[5:8], v[5:6], off offset:2176
	ds_read_b128 v[1:4], v255 offset:5824
	s_mov_b32 s2, 0x9000
	ds_write_b128 v255, v[9:12] offset:2912
	v_add_co_u32_e64 v13, s[2:3], s2, v202
	v_addc_co_u32_e64 v14, s[2:3], 0, v0, s[2:3]
	s_mov_b32 s2, 0xa000
	s_waitcnt vmcnt(0) lgkmcnt(1)
	v_mul_f64 v[9:10], v[3:4], v[7:8]
	v_fma_f64 v[9:10], v[1:2], v[5:6], -v[9:10]
	v_mul_f64 v[1:2], v[1:2], v[7:8]
	v_fma_f64 v[11:12], v[3:4], v[5:6], v[1:2]
	global_load_dwordx4 v[5:8], v[13:14], off offset:992
	ds_read_b128 v[1:4], v255 offset:8736
	ds_write_b128 v255, v[9:12] offset:5824
	s_waitcnt vmcnt(0) lgkmcnt(1)
	v_mul_f64 v[9:10], v[3:4], v[7:8]
	v_fma_f64 v[9:10], v[1:2], v[5:6], -v[9:10]
	v_mul_f64 v[1:2], v[1:2], v[7:8]
	v_fma_f64 v[11:12], v[3:4], v[5:6], v[1:2]
	global_load_dwordx4 v[5:8], v[13:14], off offset:3904
	ds_read_b128 v[1:4], v255 offset:11648
	ds_write_b128 v255, v[9:12] offset:8736
	s_waitcnt vmcnt(0) lgkmcnt(1)
	v_mul_f64 v[9:10], v[3:4], v[7:8]
	v_fma_f64 v[9:10], v[1:2], v[5:6], -v[9:10]
	v_mul_f64 v[1:2], v[1:2], v[7:8]
	v_fma_f64 v[11:12], v[3:4], v[5:6], v[1:2]
	v_add_co_u32_e64 v5, s[2:3], s2, v202
	v_addc_co_u32_e64 v6, s[2:3], 0, v0, s[2:3]
	global_load_dwordx4 v[5:8], v[5:6], off offset:2720
	ds_read_b128 v[1:4], v255 offset:14560
	s_mov_b32 s2, 0xb000
	ds_write_b128 v255, v[9:12] offset:11648
	s_waitcnt vmcnt(0) lgkmcnt(1)
	v_mul_f64 v[9:10], v[3:4], v[7:8]
	v_fma_f64 v[9:10], v[1:2], v[5:6], -v[9:10]
	v_mul_f64 v[1:2], v[1:2], v[7:8]
	v_fma_f64 v[11:12], v[3:4], v[5:6], v[1:2]
	v_add_co_u32_e64 v5, s[2:3], s2, v202
	v_addc_co_u32_e64 v6, s[2:3], 0, v0, s[2:3]
	global_load_dwordx4 v[5:8], v[5:6], off offset:1536
	ds_read_b128 v[1:4], v255 offset:17472
	s_mov_b32 s2, 0xc000
	ds_write_b128 v255, v[9:12] offset:14560
	v_add_co_u32_e64 v13, s[2:3], s2, v202
	v_addc_co_u32_e64 v14, s[2:3], 0, v0, s[2:3]
	s_mov_b32 s2, 0xd000
	s_waitcnt vmcnt(0) lgkmcnt(1)
	v_mul_f64 v[9:10], v[3:4], v[7:8]
	v_fma_f64 v[9:10], v[1:2], v[5:6], -v[9:10]
	v_mul_f64 v[1:2], v[1:2], v[7:8]
	v_fma_f64 v[11:12], v[3:4], v[5:6], v[1:2]
	global_load_dwordx4 v[5:8], v[13:14], off offset:352
	ds_read_b128 v[1:4], v255 offset:20384
	ds_write_b128 v255, v[9:12] offset:17472
	s_waitcnt vmcnt(0) lgkmcnt(1)
	v_mul_f64 v[9:10], v[3:4], v[7:8]
	v_fma_f64 v[9:10], v[1:2], v[5:6], -v[9:10]
	v_mul_f64 v[1:2], v[1:2], v[7:8]
	v_fma_f64 v[11:12], v[3:4], v[5:6], v[1:2]
	global_load_dwordx4 v[5:8], v[13:14], off offset:3264
	ds_read_b128 v[1:4], v255 offset:23296
	ds_write_b128 v255, v[9:12] offset:20384
	s_waitcnt vmcnt(0) lgkmcnt(1)
	v_mul_f64 v[9:10], v[3:4], v[7:8]
	v_fma_f64 v[9:10], v[1:2], v[5:6], -v[9:10]
	v_mul_f64 v[1:2], v[1:2], v[7:8]
	v_fma_f64 v[11:12], v[3:4], v[5:6], v[1:2]
	v_add_co_u32_e64 v5, s[2:3], s2, v202
	v_addc_co_u32_e64 v6, s[2:3], 0, v0, s[2:3]
	global_load_dwordx4 v[5:8], v[5:6], off offset:2080
	ds_read_b128 v[1:4], v255 offset:26208
	s_mov_b32 s3, 0x3fe2cf23
	ds_write_b128 v255, v[9:12] offset:23296
	s_mov_b32 s2, s14
	s_waitcnt vmcnt(0) lgkmcnt(1)
	v_mul_f64 v[9:10], v[3:4], v[7:8]
	v_fma_f64 v[9:10], v[1:2], v[5:6], -v[9:10]
	v_mul_f64 v[0:1], v[1:2], v[7:8]
	v_fma_f64 v[11:12], v[3:4], v[5:6], v[0:1]
	ds_write_b128 v255, v[9:12] offset:26208
	s_waitcnt lgkmcnt(0)
	s_barrier
	ds_read_b128 v[2:5], v255
	ds_read_b128 v[176:179], v255 offset:2912
	ds_read_b128 v[6:9], v255 offset:5824
	;; [unrolled: 1-line block ×9, first 2 shown]
	s_waitcnt lgkmcnt(7)
	v_add_f64 v[0:1], v[2:3], v[6:7]
	s_waitcnt lgkmcnt(3)
	v_add_f64 v[28:29], v[12:13], -v[16:17]
	v_add_f64 v[30:31], v[6:7], -v[10:11]
	s_waitcnt lgkmcnt(1)
	v_add_f64 v[24:25], v[8:9], -v[20:21]
	v_add_f64 v[32:33], v[18:19], -v[14:15]
	s_waitcnt lgkmcnt(0)
	v_add_f64 v[34:35], v[186:187], -v[190:191]
	s_barrier
	v_add_f64 v[0:1], v[0:1], v[10:11]
	v_add_f64 v[30:31], v[30:31], v[32:33]
	v_add_f64 v[32:33], v[182:183], -v[174:175]
	v_add_f64 v[0:1], v[0:1], v[14:15]
	v_add_f64 v[32:33], v[32:33], v[34:35]
	;; [unrolled: 1-line block ×4, first 2 shown]
	v_fma_f64 v[0:1], v[0:1], -0.5, v[2:3]
	v_fma_f64 v[26:27], v[24:25], s[16:17], v[0:1]
	v_fma_f64 v[0:1], v[24:25], s[4:5], v[0:1]
	;; [unrolled: 1-line block ×6, first 2 shown]
	v_add_f64 v[0:1], v[6:7], v[18:19]
	v_add_f64 v[26:27], v[10:11], -v[6:7]
	v_add_f64 v[30:31], v[14:15], -v[18:19]
	;; [unrolled: 1-line block ×6, first 2 shown]
	v_fma_f64 v[0:1], v[0:1], -0.5, v[2:3]
	v_add_f64 v[26:27], v[26:27], v[30:31]
	v_add_f64 v[30:31], v[190:191], -v[186:187]
	v_add_f64 v[14:15], v[14:15], v[18:19]
	v_add_f64 v[18:19], v[188:189], -v[184:185]
	v_fma_f64 v[2:3], v[28:29], s[4:5], v[0:1]
	v_fma_f64 v[0:1], v[28:29], s[16:17], v[0:1]
	v_add_f64 v[28:29], v[174:175], -v[182:183]
	v_fma_f64 v[2:3], v[24:25], s[14:15], v[2:3]
	v_fma_f64 v[0:1], v[24:25], s[2:3], v[0:1]
	v_add_f64 v[24:25], v[184:185], -v[188:189]
	v_add_f64 v[28:29], v[28:29], v[30:31]
	v_fma_f64 v[202:203], v[26:27], s[12:13], v[2:3]
	v_fma_f64 v[204:205], v[26:27], s[12:13], v[0:1]
	v_add_f64 v[0:1], v[4:5], v[8:9]
	v_add_f64 v[26:27], v[180:181], -v[184:185]
	v_add_f64 v[0:1], v[0:1], v[12:13]
	v_add_f64 v[0:1], v[0:1], v[16:17]
	;; [unrolled: 1-line block ×4, first 2 shown]
	v_fma_f64 v[2:3], v[0:1], -0.5, v[4:5]
	v_fma_f64 v[0:1], v[6:7], s[4:5], v[2:3]
	v_fma_f64 v[2:3], v[6:7], s[16:17], v[2:3]
	;; [unrolled: 1-line block ×6, first 2 shown]
	v_add_f64 v[14:15], v[8:9], v[20:21]
	v_add_f64 v[8:9], v[12:13], -v[8:9]
	v_add_f64 v[12:13], v[16:17], -v[20:21]
	;; [unrolled: 1-line block ×4, first 2 shown]
	v_fma_f64 v[14:15], v[14:15], -0.5, v[4:5]
	v_add_f64 v[8:9], v[8:9], v[12:13]
	v_add_f64 v[16:17], v[16:17], v[18:19]
	;; [unrolled: 1-line block ×3, first 2 shown]
	v_fma_f64 v[4:5], v[10:11], s[16:17], v[14:15]
	v_fma_f64 v[10:11], v[10:11], s[4:5], v[14:15]
	v_add_f64 v[14:15], v[182:183], -v[186:187]
	v_fma_f64 v[4:5], v[6:7], s[2:3], v[4:5]
	v_fma_f64 v[6:7], v[6:7], s[14:15], v[10:11]
	v_add_f64 v[10:11], v[174:175], -v[190:191]
	v_fma_f64 v[4:5], v[8:9], s[12:13], v[4:5]
	v_fma_f64 v[6:7], v[8:9], s[12:13], v[6:7]
	v_add_f64 v[8:9], v[176:177], v[172:173]
	v_add_f64 v[8:9], v[8:9], v[180:181]
	;; [unrolled: 1-line block ×5, first 2 shown]
	v_fma_f64 v[8:9], v[8:9], -0.5, v[176:177]
	v_fma_f64 v[12:13], v[10:11], s[16:17], v[8:9]
	v_fma_f64 v[8:9], v[10:11], s[4:5], v[8:9]
	;; [unrolled: 1-line block ×6, first 2 shown]
	v_add_f64 v[16:17], v[172:173], v[188:189]
	v_fma_f64 v[16:17], v[16:17], -0.5, v[176:177]
	v_fma_f64 v[18:19], v[14:15], s[4:5], v[16:17]
	v_fma_f64 v[14:15], v[14:15], s[16:17], v[16:17]
	v_add_f64 v[16:17], v[182:183], v[186:187]
	v_fma_f64 v[18:19], v[10:11], s[14:15], v[18:19]
	v_fma_f64 v[10:11], v[10:11], s[2:3], v[14:15]
	v_fma_f64 v[16:17], v[16:17], -0.5, v[178:179]
	v_add_f64 v[14:15], v[178:179], v[174:175]
	v_fma_f64 v[18:19], v[20:21], s[12:13], v[18:19]
	v_fma_f64 v[10:11], v[20:21], s[12:13], v[10:11]
	v_add_f64 v[20:21], v[172:173], -v[188:189]
	v_add_f64 v[14:15], v[14:15], v[182:183]
	v_add_f64 v[172:173], v[192:193], v[200:201]
	v_add_f64 v[200:201], v[192:193], -v[200:201]
	v_fma_f64 v[24:25], v[20:21], s[4:5], v[16:17]
	v_fma_f64 v[16:17], v[20:21], s[16:17], v[16:17]
	v_add_f64 v[14:15], v[14:15], v[186:187]
	v_fma_f64 v[24:25], v[26:27], s[2:3], v[24:25]
	v_fma_f64 v[16:17], v[26:27], s[14:15], v[16:17]
	v_add_f64 v[14:15], v[14:15], v[190:191]
	;; [unrolled: 3-line block ×3, first 2 shown]
	v_add_f64 v[174:175], v[198:199], v[14:15]
	v_mul_f64 v[34:35], v[16:17], s[14:15]
	v_fma_f64 v[28:29], v[28:29], -0.5, v[178:179]
	v_fma_f64 v[30:31], v[26:27], s[16:17], v[28:29]
	v_fma_f64 v[26:27], v[26:27], s[4:5], v[28:29]
	;; [unrolled: 1-line block ×4, first 2 shown]
	v_mul_f64 v[26:27], v[24:25], s[14:15]
	s_mov_b32 s15, 0xbfe9e377
	s_mov_b32 s14, s18
	v_mul_f64 v[16:17], v[16:17], s[14:15]
	v_fma_f64 v[34:35], v[8:9], s[14:15], v[34:35]
	v_fma_f64 v[30:31], v[32:33], s[12:13], v[30:31]
	;; [unrolled: 1-line block ×4, first 2 shown]
	v_mul_f64 v[12:13], v[12:13], s[2:3]
	v_fma_f64 v[8:9], v[8:9], s[2:3], v[16:17]
	v_add_f64 v[188:189], v[194:195], v[34:35]
	v_add_f64 v[208:209], v[194:195], -v[34:35]
	v_mul_f64 v[28:29], v[30:31], s[16:17]
	v_mul_f64 v[32:33], v[20:21], s[16:17]
	s_mov_b32 s17, 0xbfd3c6ef
	s_mov_b32 s16, s12
	v_fma_f64 v[12:13], v[24:25], s[18:19], v[12:13]
	v_mul_f64 v[24:25], v[30:31], s[12:13]
	v_mul_f64 v[20:21], v[20:21], s[16:17]
	v_add_f64 v[176:177], v[196:197], v[26:27]
	v_fma_f64 v[28:29], v[18:19], s[12:13], v[28:29]
	v_fma_f64 v[32:33], v[10:11], s[16:17], v[32:33]
	v_add_f64 v[190:191], v[2:3], v[8:9]
	v_add_f64 v[192:193], v[196:197], -v[26:27]
	v_add_f64 v[178:179], v[0:1], v[12:13]
	v_fma_f64 v[18:19], v[18:19], s[4:5], v[24:25]
	v_fma_f64 v[10:11], v[10:11], s[4:5], v[20:21]
	v_add_f64 v[194:195], v[0:1], -v[12:13]
	v_add_f64 v[180:181], v[202:203], v[28:29]
	v_add_f64 v[184:185], v[204:205], v[32:33]
	v_add_f64 v[196:197], v[202:203], -v[28:29]
	v_add_f64 v[204:205], v[204:205], -v[32:33]
	v_add_f64 v[202:203], v[198:199], -v[14:15]
	v_add_f64 v[182:183], v[4:5], v[18:19]
	v_add_f64 v[186:187], v[6:7], v[10:11]
	v_add_f64 v[198:199], v[4:5], -v[18:19]
	v_add_f64 v[206:207], v[6:7], -v[10:11]
	;; [unrolled: 1-line block ×3, first 2 shown]
	ds_write_b128 v216, v[172:175]
	ds_write_b128 v216, v[176:179] offset:16
	ds_write_b128 v216, v[180:183] offset:32
	;; [unrolled: 1-line block ×9, first 2 shown]
	s_waitcnt lgkmcnt(0)
	s_barrier
	s_and_saveexec_b64 s[2:3], vcc
	s_cbranch_execz .LBB0_11
; %bb.10:
	ds_read_b128 v[172:175], v255
	ds_read_b128 v[176:179], v255 offset:2240
	ds_read_b128 v[180:183], v255 offset:4480
	;; [unrolled: 1-line block ×12, first 2 shown]
.LBB0_11:
	s_or_b64 exec, exec, s[2:3]
	s_waitcnt lgkmcnt(11)
	v_mul_f64 v[0:1], v[138:139], v[178:179]
	s_mov_b32 s2, 0xe00740e9
	s_mov_b32 s30, 0x4267c47c
	;; [unrolled: 1-line block ×7, first 2 shown]
	v_fma_f64 v[2:3], v[136:137], v[176:177], v[0:1]
	v_mul_f64 v[0:1], v[138:139], v[176:177]
	s_mov_b32 s26, 0x2ef20147
	s_mov_b32 s18, 0x24c2f84
	;; [unrolled: 1-line block ×7, first 2 shown]
	v_fma_f64 v[6:7], v[136:137], v[178:179], -v[0:1]
	s_waitcnt lgkmcnt(10)
	v_mul_f64 v[0:1], v[134:135], v[182:183]
	s_mov_b32 s23, 0xbfefc445
	s_mov_b32 s21, 0xbfd6b1d8
	;; [unrolled: 1-line block ×7, first 2 shown]
	v_fma_f64 v[28:29], v[132:133], v[180:181], v[0:1]
	v_mul_f64 v[0:1], v[134:135], v[180:181]
	s_mov_b32 s29, 0xbfef11f4
	s_mov_b32 s16, 0xd0032e0c
	;; [unrolled: 1-line block ×7, first 2 shown]
	v_fma_f64 v[30:31], v[132:133], v[182:183], -v[0:1]
	s_waitcnt lgkmcnt(9)
	v_mul_f64 v[0:1], v[126:127], v[186:187]
	s_mov_b32 s35, 0x3fefc445
	s_mov_b32 s34, s22
	;; [unrolled: 1-line block ×7, first 2 shown]
	v_fma_f64 v[32:33], v[124:125], v[184:185], v[0:1]
	v_mul_f64 v[0:1], v[126:127], v[184:185]
	s_mov_b32 s42, s12
	v_fma_f64 v[36:37], v[124:125], v[186:187], -v[0:1]
	s_waitcnt lgkmcnt(8)
	v_mul_f64 v[0:1], v[118:119], v[190:191]
	v_fma_f64 v[34:35], v[116:117], v[188:189], v[0:1]
	v_mul_f64 v[0:1], v[118:119], v[188:189]
	v_fma_f64 v[116:117], v[116:117], v[190:191], -v[0:1]
	s_waitcnt lgkmcnt(7)
	v_mul_f64 v[0:1], v[142:143], v[202:203]
	v_fma_f64 v[38:39], v[140:141], v[200:201], v[0:1]
	v_mul_f64 v[0:1], v[142:143], v[200:201]
	;; [unrolled: 5-line block ×4, first 2 shown]
	v_fma_f64 v[192:193], v[120:121], v[198:199], -v[0:1]
	s_waitcnt lgkmcnt(4)
	v_mul_f64 v[0:1], v[150:151], v[206:207]
	v_add_f64 v[198:199], v[132:133], v[190:191]
	v_fma_f64 v[134:135], v[148:149], v[204:205], v[0:1]
	v_mul_f64 v[0:1], v[150:151], v[204:205]
	v_add_f64 v[184:185], v[38:39], v[134:135]
	v_fma_f64 v[138:139], v[148:149], v[206:207], -v[0:1]
	s_waitcnt lgkmcnt(3)
	v_mul_f64 v[0:1], v[158:159], v[210:211]
	v_fma_f64 v[128:129], v[156:157], v[208:209], v[0:1]
	v_mul_f64 v[0:1], v[158:159], v[208:209]
	v_add_f64 v[204:205], v[34:35], v[128:129]
	v_fma_f64 v[130:131], v[156:157], v[210:211], -v[0:1]
	s_waitcnt lgkmcnt(2)
	v_mul_f64 v[0:1], v[154:155], v[166:167]
	;; [unrolled: 6-line block ×4, first 2 shown]
	v_add_f64 v[26:27], v[30:31], v[120:121]
	v_fma_f64 v[4:5], v[112:113], v[160:161], v[0:1]
	v_mul_f64 v[0:1], v[114:115], v[160:161]
	v_mul_f64 v[243:244], v[26:27], s[16:17]
	v_add_f64 v[170:171], v[2:3], v[4:5]
	v_fma_f64 v[146:147], v[112:113], v[162:163], -v[0:1]
	buffer_store_dword v2, off, s[48:51], 0 offset:180 ; 4-byte Folded Spill
	s_nop 0
	buffer_store_dword v3, off, s[48:51], 0 offset:184 ; 4-byte Folded Spill
	buffer_store_dword v4, off, s[48:51], 0 offset:236 ; 4-byte Folded Spill
	s_nop 0
	buffer_store_dword v5, off, s[48:51], 0 offset:240 ; 4-byte Folded Spill
	v_mul_f64 v[112:113], v[26:27], s[4:5]
	v_mul_f64 v[166:167], v[26:27], s[14:15]
	;; [unrolled: 1-line block ×3, first 2 shown]
	v_add_f64 v[0:1], v[6:7], v[146:147]
	buffer_store_dword v6, off, s[48:51], 0 offset:244 ; 4-byte Folded Spill
	s_nop 0
	buffer_store_dword v7, off, s[48:51], 0 offset:248 ; 4-byte Folded Spill
	v_mul_f64 v[10:11], v[0:1], s[4:5]
	v_mul_f64 v[14:15], v[0:1], s[14:15]
	;; [unrolled: 1-line block ×5, first 2 shown]
	v_add_f64 v[202:203], v[2:3], -v[4:5]
	v_add_f64 v[2:3], v[6:7], -v[146:147]
	v_mul_f64 v[6:7], v[0:1], s[2:3]
	v_fma_f64 v[24:25], v[202:203], s[18:19], v[241:242]
	v_mul_f64 v[4:5], v[2:3], s[30:31]
	v_mul_f64 v[8:9], v[2:3], s[12:13]
	;; [unrolled: 1-line block ×5, first 2 shown]
	buffer_store_dword v4, off, s[48:51], 0 offset:364 ; 4-byte Folded Spill
	s_nop 0
	buffer_store_dword v5, off, s[48:51], 0 offset:368 ; 4-byte Folded Spill
	buffer_store_dword v6, off, s[48:51], 0 offset:372 ; 4-byte Folded Spill
	s_nop 0
	buffer_store_dword v7, off, s[48:51], 0 offset:376 ; 4-byte Folded Spill
	;; [unrolled: 3-line block ×13, first 2 shown]
	v_mul_f64 v[253:254], v[2:3], s[24:25]
	v_fma_f64 v[2:3], v[202:203], s[24:25], v[154:155]
	v_add_f64 v[24:25], v[174:175], v[24:25]
	v_fma_f64 v[0:1], v[170:171], s[28:29], -v[253:254]
	v_add_f64 v[2:3], v[174:175], v[2:3]
	v_add_f64 v[0:1], v[172:173], v[0:1]
	v_fma_f64 v[4:5], v[170:171], s[2:3], -v[4:5]
	v_fma_f64 v[6:7], v[202:203], s[30:31], v[6:7]
	v_fma_f64 v[8:9], v[170:171], s[4:5], -v[8:9]
	v_fma_f64 v[10:11], v[202:203], s[12:13], v[10:11]
	;; [unrolled: 2-line block ×4, first 2 shown]
	v_add_f64 v[4:5], v[172:173], v[4:5]
	v_add_f64 v[221:222], v[28:29], -v[118:119]
	v_add_f64 v[28:29], v[30:31], -v[120:121]
	v_add_f64 v[6:7], v[174:175], v[6:7]
	v_add_f64 v[8:9], v[172:173], v[8:9]
	;; [unrolled: 1-line block ×7, first 2 shown]
	v_mul_f64 v[30:31], v[28:29], s[12:13]
	buffer_store_dword v30, off, s[48:51], 0 offset:412 ; 4-byte Folded Spill
	s_nop 0
	buffer_store_dword v31, off, s[48:51], 0 offset:416 ; 4-byte Folded Spill
	buffer_store_dword v112, off, s[48:51], 0 offset:420 ; 4-byte Folded Spill
	s_nop 0
	buffer_store_dword v113, off, s[48:51], 0 offset:424 ; 4-byte Folded Spill
	v_mul_f64 v[136:137], v[28:29], s[36:37]
	v_mul_f64 v[237:238], v[28:29], s[38:39]
	v_fma_f64 v[20:21], v[170:171], s[16:17], -v[20:21]
	v_mul_f64 v[249:250], v[28:29], s[34:35]
	v_add_f64 v[20:21], v[172:173], v[20:21]
	v_fma_f64 v[30:31], v[219:220], s[4:5], -v[30:31]
	v_add_f64 v[4:5], v[30:31], v[4:5]
	v_fma_f64 v[30:31], v[221:222], s[12:13], v[112:113]
	v_mul_f64 v[112:113], v[26:27], s[20:21]
	v_add_f64 v[6:7], v[30:31], v[6:7]
	v_mul_f64 v[30:31], v[28:29], s[26:27]
	buffer_store_dword v30, off, s[48:51], 0 offset:428 ; 4-byte Folded Spill
	s_nop 0
	buffer_store_dword v31, off, s[48:51], 0 offset:432 ; 4-byte Folded Spill
	buffer_store_dword v112, off, s[48:51], 0 offset:436 ; 4-byte Folded Spill
	s_nop 0
	buffer_store_dword v113, off, s[48:51], 0 offset:440 ; 4-byte Folded Spill
	v_fma_f64 v[30:31], v[219:220], s[20:21], -v[30:31]
	v_add_f64 v[8:9], v[30:31], v[8:9]
	v_fma_f64 v[30:31], v[221:222], s[26:27], v[112:113]
	v_mul_f64 v[112:113], v[26:27], s[28:29]
	v_fma_f64 v[26:27], v[219:220], s[2:3], -v[136:137]
	v_add_f64 v[10:11], v[30:31], v[10:11]
	v_mul_f64 v[30:31], v[28:29], s[24:25]
	buffer_store_dword v30, off, s[48:51], 0 offset:452 ; 4-byte Folded Spill
	s_nop 0
	buffer_store_dword v31, off, s[48:51], 0 offset:456 ; 4-byte Folded Spill
	buffer_store_dword v112, off, s[48:51], 0 offset:476 ; 4-byte Folded Spill
	s_nop 0
	buffer_store_dword v113, off, s[48:51], 0 offset:480 ; 4-byte Folded Spill
	v_add_f64 v[0:1], v[26:27], v[0:1]
	v_fma_f64 v[26:27], v[221:222], s[36:37], v[176:177]
	buffer_store_dword v32, off, s[48:51], 0 offset:196 ; 4-byte Folded Spill
	s_nop 0
	buffer_store_dword v33, off, s[48:51], 0 offset:200 ; 4-byte Folded Spill
	buffer_store_dword v122, off, s[48:51], 0 offset:276 ; 4-byte Folded Spill
	s_nop 0
	buffer_store_dword v123, off, s[48:51], 0 offset:280 ; 4-byte Folded Spill
	v_add_f64 v[2:3], v[26:27], v[2:3]
	v_add_f64 v[26:27], v[36:37], v[126:127]
	buffer_store_dword v36, off, s[48:51], 0 offset:220 ; 4-byte Folded Spill
	s_nop 0
	buffer_store_dword v37, off, s[48:51], 0 offset:224 ; 4-byte Folded Spill
	buffer_store_dword v126, off, s[48:51], 0 offset:292 ; 4-byte Folded Spill
	s_nop 0
	buffer_store_dword v127, off, s[48:51], 0 offset:296 ; 4-byte Folded Spill
	v_mul_f64 v[233:234], v[26:27], s[28:29]
	v_mul_f64 v[239:240], v[26:27], s[20:21]
	;; [unrolled: 1-line block ×5, first 2 shown]
	v_fma_f64 v[30:31], v[219:220], s[28:29], -v[30:31]
	v_add_f64 v[247:248], v[32:33], -v[122:123]
	v_mul_f64 v[32:33], v[26:27], s[14:15]
	v_add_f64 v[12:13], v[30:31], v[12:13]
	v_fma_f64 v[30:31], v[221:222], s[24:25], v[112:113]
	v_add_f64 v[28:29], v[36:37], -v[126:127]
	v_add_f64 v[14:15], v[30:31], v[14:15]
	v_fma_f64 v[30:31], v[219:220], s[16:17], -v[237:238]
	v_mul_f64 v[231:232], v[28:29], s[24:25]
	v_mul_f64 v[235:236], v[28:29], s[40:41]
	;; [unrolled: 1-line block ×5, first 2 shown]
	v_add_f64 v[16:17], v[30:31], v[16:17]
	v_fma_f64 v[30:31], v[221:222], s[38:39], v[243:244]
	v_fma_f64 v[26:27], v[245:246], s[16:17], -v[148:149]
	v_add_f64 v[18:19], v[30:31], v[18:19]
	v_fma_f64 v[30:31], v[219:220], s[14:15], -v[249:250]
	v_add_f64 v[26:27], v[26:27], v[0:1]
	v_fma_f64 v[0:1], v[247:248], s[18:19], v[186:187]
	v_add_f64 v[20:21], v[30:31], v[20:21]
	v_fma_f64 v[30:31], v[221:222], s[34:35], v[166:167]
	v_add_f64 v[2:3], v[0:1], v[2:3]
	v_add_f64 v[24:25], v[30:31], v[24:25]
	v_mul_f64 v[30:31], v[28:29], s[22:23]
	buffer_store_dword v30, off, s[48:51], 0 offset:484 ; 4-byte Folded Spill
	s_nop 0
	buffer_store_dword v31, off, s[48:51], 0 offset:488 ; 4-byte Folded Spill
	buffer_store_dword v32, off, s[48:51], 0 offset:492 ; 4-byte Folded Spill
	s_nop 0
	buffer_store_dword v33, off, s[48:51], 0 offset:496 ; 4-byte Folded Spill
	v_add_f64 v[28:29], v[116:117], v[130:131]
	buffer_store_dword v34, off, s[48:51], 0 offset:212 ; 4-byte Folded Spill
	s_nop 0
	buffer_store_dword v35, off, s[48:51], 0 offset:216 ; 4-byte Folded Spill
	buffer_store_dword v128, off, s[48:51], 0 offset:308 ; 4-byte Folded Spill
	s_nop 0
	buffer_store_dword v129, off, s[48:51], 0 offset:312 ; 4-byte Folded Spill
	;; [unrolled: 3-line block ×6, first 2 shown]
	v_mul_f64 v[152:153], v[28:29], s[20:21]
	v_mul_f64 v[160:161], v[28:29], s[16:17]
	;; [unrolled: 1-line block ×6, first 2 shown]
	v_fma_f64 v[30:31], v[245:246], s[14:15], -v[30:31]
	v_add_f64 v[206:207], v[34:35], -v[128:129]
	v_add_f64 v[0:1], v[116:117], -v[130:131]
	;; [unrolled: 1-line block ×3, first 2 shown]
	v_add_f64 v[4:5], v[30:31], v[4:5]
	v_fma_f64 v[30:31], v[247:248], s[22:23], v[32:33]
	v_mul_f64 v[251:252], v[0:1], s[26:27]
	v_mul_f64 v[158:159], v[0:1], s[38:39]
	;; [unrolled: 1-line block ×5, first 2 shown]
	v_add_f64 v[6:7], v[30:31], v[6:7]
	v_fma_f64 v[30:31], v[245:246], s[28:29], -v[231:232]
	v_mul_f64 v[0:1], v[0:1], s[42:43]
	v_add_f64 v[8:9], v[30:31], v[8:9]
	v_fma_f64 v[30:31], v[247:248], s[24:25], v[233:234]
	v_fma_f64 v[28:29], v[204:205], s[4:5], -v[0:1]
	v_add_f64 v[10:11], v[30:31], v[10:11]
	v_fma_f64 v[30:31], v[245:246], s[20:21], -v[235:236]
	v_add_f64 v[26:27], v[28:29], v[26:27]
	v_fma_f64 v[28:29], v[206:207], s[42:43], v[229:230]
	v_add_f64 v[12:13], v[30:31], v[12:13]
	v_fma_f64 v[30:31], v[247:248], s[40:41], v[239:240]
	v_add_f64 v[28:29], v[28:29], v[2:3]
	v_add_f64 v[14:15], v[30:31], v[14:15]
	v_fma_f64 v[30:31], v[245:246], s[2:3], -v[164:165]
	v_add_f64 v[16:17], v[30:31], v[16:17]
	v_fma_f64 v[30:31], v[247:248], s[36:37], v[208:209]
	v_add_f64 v[18:19], v[30:31], v[18:19]
	v_fma_f64 v[30:31], v[245:246], s[4:5], -v[210:211]
	v_add_f64 v[20:21], v[30:31], v[20:21]
	v_fma_f64 v[30:31], v[247:248], s[12:13], v[140:141]
	;; [unrolled: 4-line block ×7, first 2 shown]
	v_add_f64 v[24:25], v[30:31], v[24:25]
	v_add_f64 v[30:31], v[124:125], v[138:139]
	buffer_store_dword v124, off, s[48:51], 0 offset:284 ; 4-byte Folded Spill
	s_nop 0
	buffer_store_dword v125, off, s[48:51], 0 offset:288 ; 4-byte Folded Spill
	buffer_store_dword v138, off, s[48:51], 0 offset:348 ; 4-byte Folded Spill
	s_nop 0
	buffer_store_dword v139, off, s[48:51], 0 offset:352 ; 4-byte Folded Spill
	;; [unrolled: 3-line block ×4, first 2 shown]
	v_mul_f64 v[178:179], v[30:31], s[14:15]
	v_mul_f64 v[214:215], v[30:31], s[4:5]
	;; [unrolled: 1-line block ×3, first 2 shown]
	v_add_f64 v[32:33], v[124:125], -v[138:139]
	v_mul_f64 v[138:139], v[30:31], s[16:17]
	v_add_f64 v[223:224], v[132:133], -v[190:191]
	v_mul_f64 v[212:213], v[32:33], s[18:19]
	v_mul_f64 v[217:218], v[32:33], s[34:35]
	;; [unrolled: 1-line block ×4, first 2 shown]
	v_fma_f64 v[2:3], v[184:185], s[16:17], -v[212:213]
	v_add_f64 v[34:35], v[2:3], v[4:5]
	v_fma_f64 v[2:3], v[142:143], s[18:19], v[138:139]
	v_mul_f64 v[4:5], v[30:31], s[2:3]
	v_add_f64 v[6:7], v[2:3], v[6:7]
	v_fma_f64 v[2:3], v[184:185], s[14:15], -v[217:218]
	v_add_f64 v[8:9], v[2:3], v[8:9]
	v_fma_f64 v[2:3], v[142:143], s[34:35], v[178:179]
	v_add_f64 v[10:11], v[2:3], v[10:11]
	v_fma_f64 v[2:3], v[184:185], s[4:5], -v[180:181]
	v_add_f64 v[36:37], v[2:3], v[12:13]
	v_fma_f64 v[2:3], v[142:143], s[12:13], v[214:215]
	;; [unrolled: 4-line block ×3, first 2 shown]
	v_mul_f64 v[16:17], v[30:31], s[20:21]
	v_add_f64 v[18:19], v[2:3], v[18:19]
	v_mul_f64 v[2:3], v[32:33], s[36:37]
	v_fma_f64 v[12:13], v[184:185], s[2:3], -v[2:3]
	v_add_f64 v[20:21], v[12:13], v[20:21]
	v_fma_f64 v[12:13], v[142:143], s[36:37], v[4:5]
	v_add_f64 v[24:25], v[12:13], v[24:25]
	v_mul_f64 v[12:13], v[32:33], s[26:27]
	v_fma_f64 v[30:31], v[184:185], s[20:21], -v[12:13]
	v_add_f64 v[26:27], v[30:31], v[26:27]
	v_fma_f64 v[30:31], v[142:143], s[26:27], v[16:17]
	v_add_f64 v[28:29], v[30:31], v[28:29]
	v_add_f64 v[30:31], v[188:189], v[192:193]
	buffer_store_dword v188, off, s[48:51], 0 offset:332 ; 4-byte Folded Spill
	s_nop 0
	buffer_store_dword v189, off, s[48:51], 0 offset:336 ; 4-byte Folded Spill
	buffer_store_dword v192, off, s[48:51], 0 offset:356 ; 4-byte Folded Spill
	s_nop 0
	buffer_store_dword v193, off, s[48:51], 0 offset:360 ; 4-byte Folded Spill
	s_waitcnt vmcnt(0)
	s_barrier
	v_mul_f64 v[190:191], v[30:31], s[28:29]
	v_mul_f64 v[225:226], v[30:31], s[16:17]
	v_add_f64 v[32:33], v[188:189], -v[192:193]
	v_mul_f64 v[192:193], v[30:31], s[2:3]
	v_mul_f64 v[188:189], v[32:33], s[24:25]
	;; [unrolled: 1-line block ×4, first 2 shown]
	v_fma_f64 v[112:113], v[198:199], s[28:29], -v[188:189]
	v_add_f64 v[112:113], v[112:113], v[34:35]
	v_fma_f64 v[34:35], v[223:224], s[24:25], v[190:191]
	v_add_f64 v[114:115], v[34:35], v[6:7]
	v_fma_f64 v[6:7], v[198:199], s[2:3], -v[156:157]
	v_add_f64 v[116:117], v[6:7], v[8:9]
	v_fma_f64 v[6:7], v[223:224], s[36:37], v[192:193]
	v_add_f64 v[118:119], v[6:7], v[10:11]
	v_fma_f64 v[6:7], v[198:199], s[16:17], -v[200:201]
	v_mul_f64 v[10:11], v[30:31], s[4:5]
	v_add_f64 v[120:121], v[6:7], v[36:37]
	v_fma_f64 v[6:7], v[223:224], s[18:19], v[225:226]
	v_add_f64 v[122:123], v[6:7], v[14:15]
	v_mul_f64 v[6:7], v[32:33], s[42:43]
	v_mul_f64 v[14:15], v[30:31], s[20:21]
	v_fma_f64 v[8:9], v[198:199], s[4:5], -v[6:7]
	v_add_f64 v[132:133], v[8:9], v[38:39]
	v_fma_f64 v[8:9], v[223:224], s[42:43], v[10:11]
	v_add_f64 v[134:135], v[8:9], v[18:19]
	v_mul_f64 v[8:9], v[32:33], s[26:27]
	v_fma_f64 v[18:19], v[198:199], s[20:21], -v[8:9]
	v_add_f64 v[128:129], v[18:19], v[20:21]
	v_fma_f64 v[18:19], v[223:224], s[26:27], v[14:15]
	v_mul_f64 v[20:21], v[30:31], s[14:15]
	v_add_f64 v[130:131], v[18:19], v[24:25]
	v_mul_f64 v[18:19], v[32:33], s[34:35]
	v_fma_f64 v[24:25], v[198:199], s[14:15], -v[18:19]
	v_add_f64 v[124:125], v[24:25], v[26:27]
	v_fma_f64 v[24:25], v[223:224], s[34:35], v[20:21]
	v_add_f64 v[126:127], v[24:25], v[28:29]
	s_and_saveexec_b64 s[46:47], vcc
	s_cbranch_execz .LBB0_13
; %bb.12:
	v_mul_f64 v[26:27], v[202:203], s[24:25]
	v_mul_f64 v[30:31], v[221:222], s[36:37]
	;; [unrolled: 1-line block ×8, first 2 shown]
	v_add_f64 v[26:27], v[154:155], -v[26:27]
	v_add_f64 v[30:31], v[176:177], -v[30:31]
	v_add_f64 v[28:29], v[28:29], v[253:254]
	v_add_f64 v[20:21], v[20:21], -v[24:25]
	v_mul_f64 v[24:25], v[142:143], s[26:27]
	v_add_f64 v[34:35], v[34:35], v[136:137]
	v_add_f64 v[32:33], v[186:187], -v[32:33]
	v_add_f64 v[12:13], v[36:37], v[12:13]
	v_add_f64 v[26:27], v[174:175], v[26:27]
	v_mul_f64 v[36:37], v[245:246], s[16:17]
	v_add_f64 v[28:29], v[172:173], v[28:29]
	v_add_f64 v[38:39], v[140:141], -v[38:39]
	v_add_f64 v[16:17], v[16:17], -v[24:25]
	v_mul_f64 v[24:25], v[206:207], s[42:43]
	v_mul_f64 v[140:141], v[202:203], s[30:31]
	;; [unrolled: 1-line block ×3, first 2 shown]
	v_add_f64 v[26:27], v[30:31], v[26:27]
	v_mul_f64 v[30:31], v[204:205], s[4:5]
	v_add_f64 v[28:29], v[34:35], v[28:29]
	v_mul_f64 v[34:35], v[221:222], s[34:35]
	v_add_f64 v[36:37], v[36:37], v[148:149]
	v_add_f64 v[24:25], v[229:230], -v[24:25]
	v_mul_f64 v[148:149], v[202:203], s[22:23]
	v_mul_f64 v[186:187], v[221:222], s[38:39]
	v_add_f64 v[26:27], v[32:33], v[26:27]
	v_add_f64 v[0:1], v[30:31], v[0:1]
	v_mul_f64 v[30:31], v[202:203], s[18:19]
	v_add_f64 v[34:35], v[166:167], -v[34:35]
	v_mul_f64 v[32:33], v[198:199], s[14:15]
	v_add_f64 v[28:29], v[36:37], v[28:29]
	v_mul_f64 v[36:37], v[206:207], s[44:45]
	v_add_f64 v[186:187], v[243:244], -v[186:187]
	v_mul_f64 v[166:167], v[221:222], s[12:13]
	v_mul_f64 v[154:155], v[219:220], s[4:5]
	v_add_f64 v[30:31], v[241:242], -v[30:31]
	v_mul_f64 v[243:244], v[223:224], s[24:25]
	v_add_f64 v[32:33], v[32:33], v[18:19]
	v_add_f64 v[18:19], v[24:25], v[26:27]
	;; [unrolled: 1-line block ×3, first 2 shown]
	v_mul_f64 v[24:25], v[170:171], s[4:5]
	v_mul_f64 v[28:29], v[170:171], s[14:15]
	v_add_f64 v[30:31], v[174:175], v[30:31]
	v_add_f64 v[16:17], v[16:17], v[18:19]
	;; [unrolled: 1-line block ×3, first 2 shown]
	v_mul_f64 v[12:13], v[170:171], s[16:17]
	v_add_f64 v[26:27], v[34:35], v[30:31]
	v_add_f64 v[34:35], v[196:197], -v[36:37]
	v_mul_f64 v[36:37], v[142:143], s[36:37]
	v_mul_f64 v[30:31], v[202:203], s[12:13]
	;; [unrolled: 1-line block ×3, first 2 shown]
	v_add_f64 v[18:19], v[38:39], v[26:27]
	v_mul_f64 v[38:39], v[202:203], s[26:27]
	v_add_f64 v[4:5], v[4:5], -v[36:37]
	v_mul_f64 v[202:203], v[204:205], s[28:29]
	v_mul_f64 v[26:27], v[170:171], s[20:21]
	;; [unrolled: 1-line block ×4, first 2 shown]
	v_add_f64 v[196:197], v[196:197], v[237:238]
	v_add_f64 v[34:35], v[34:35], v[18:19]
	v_add_f64 v[18:19], v[20:21], v[16:17]
	buffer_load_dword v20, off, s[48:51], 0 offset:468 ; 4-byte Folded Reload
	buffer_load_dword v21, off, s[48:51], 0 offset:472 ; 4-byte Folded Reload
	;; [unrolled: 1-line block ×4, first 2 shown]
	v_add_f64 v[16:17], v[32:33], v[0:1]
	v_mul_f64 v[0:1], v[219:220], s[14:15]
	v_add_f64 v[150:151], v[202:203], v[150:151]
	v_add_f64 v[14:15], v[14:15], -v[36:37]
	v_add_f64 v[4:5], v[4:5], v[34:35]
	v_mul_f64 v[34:35], v[245:246], s[4:5]
	v_add_f64 v[2:3], v[170:171], v[2:3]
	buffer_load_dword v229, off, s[48:51], 0 offset:444 ; 4-byte Folded Reload
	buffer_load_dword v230, off, s[48:51], 0 offset:448 ; 4-byte Folded Reload
	;; [unrolled: 1-line block ×4, first 2 shown]
	v_add_f64 v[0:1], v[0:1], v[249:250]
	v_mul_f64 v[170:171], v[247:248], s[36:37]
	v_mul_f64 v[202:203], v[206:207], s[22:23]
	;; [unrolled: 1-line block ×3, first 2 shown]
	v_add_f64 v[34:35], v[34:35], v[210:211]
	v_mul_f64 v[32:33], v[221:222], s[26:27]
	v_mul_f64 v[36:37], v[219:220], s[28:29]
	;; [unrolled: 1-line block ×3, first 2 shown]
	v_add_f64 v[170:171], v[208:209], -v[170:171]
	v_add_f64 v[144:145], v[144:145], -v[202:203]
	v_mul_f64 v[202:203], v[142:143], s[44:45]
	v_add_f64 v[10:11], v[10:11], -v[237:238]
	v_mul_f64 v[237:238], v[184:185], s[14:15]
	v_mul_f64 v[208:209], v[247:248], s[24:25]
	v_add_f64 v[202:203], v[227:228], -v[202:203]
	v_mul_f64 v[227:228], v[206:207], s[38:39]
	s_waitcnt vmcnt(6)
	v_add_f64 v[12:13], v[12:13], v[20:21]
	s_waitcnt vmcnt(4)
	v_add_f64 v[38:39], v[176:177], -v[38:39]
	v_mul_f64 v[176:177], v[221:222], s[24:25]
	v_mul_f64 v[221:222], v[245:246], s[2:3]
	;; [unrolled: 1-line block ×4, first 2 shown]
	v_add_f64 v[12:13], v[172:173], v[12:13]
	v_add_f64 v[38:39], v[174:175], v[38:39]
	s_waitcnt vmcnt(0)
	v_add_f64 v[148:149], v[241:242], -v[148:149]
	v_add_f64 v[26:27], v[26:27], v[229:230]
	v_mul_f64 v[229:230], v[204:205], s[20:21]
	v_add_f64 v[164:165], v[221:222], v[164:165]
	v_mul_f64 v[221:222], v[184:185], s[16:17]
	v_mul_f64 v[241:242], v[198:199], s[28:29]
	v_add_f64 v[0:1], v[0:1], v[12:13]
	v_add_f64 v[38:39], v[186:187], v[38:39]
	v_mul_f64 v[12:13], v[245:246], s[14:15]
	v_add_f64 v[26:27], v[172:173], v[26:27]
	v_mul_f64 v[186:187], v[245:246], s[20:21]
	v_add_f64 v[0:1], v[34:35], v[0:1]
	v_add_f64 v[38:39], v[170:171], v[38:39]
	v_mul_f64 v[170:171], v[206:207], s[26:27]
	v_mul_f64 v[206:207], v[206:207], s[36:37]
	v_add_f64 v[26:27], v[196:197], v[26:27]
	v_mul_f64 v[196:197], v[142:143], s[18:19]
	v_mul_f64 v[34:35], v[245:246], s[28:29]
	v_mul_f64 v[245:246], v[198:199], s[2:3]
	v_add_f64 v[0:1], v[150:151], v[0:1]
	v_add_f64 v[38:39], v[144:145], v[38:39]
	v_mul_f64 v[150:151], v[204:205], s[16:17]
	v_mul_f64 v[144:145], v[204:205], s[2:3]
	;; [unrolled: 1-line block ×3, first 2 shown]
	v_add_f64 v[26:27], v[164:165], v[26:27]
	v_mul_f64 v[164:165], v[184:185], s[4:5]
	v_mul_f64 v[184:185], v[184:185], s[28:29]
	v_add_f64 v[0:1], v[2:3], v[0:1]
	v_add_f64 v[2:3], v[14:15], v[4:5]
	buffer_load_dword v4, off, s[48:51], 0 offset:476 ; 4-byte Folded Reload
	buffer_load_dword v5, off, s[48:51], 0 offset:480 ; 4-byte Folded Reload
	;; [unrolled: 1-line block ×4, first 2 shown]
	v_add_f64 v[38:39], v[202:203], v[38:39]
	v_mul_f64 v[202:203], v[198:199], s[20:21]
	v_add_f64 v[182:183], v[204:205], v[182:183]
	v_add_f64 v[184:185], v[184:185], v[194:195]
	v_mul_f64 v[204:205], v[142:143], s[34:35]
	v_mul_f64 v[142:143], v[142:143], s[12:13]
	v_add_f64 v[34:35], v[34:35], v[231:232]
	v_mul_f64 v[194:195], v[198:199], s[4:5]
	v_mul_f64 v[198:199], v[198:199], s[16:17]
	v_add_f64 v[202:203], v[202:203], v[8:9]
	v_add_f64 v[8:9], v[10:11], v[38:39]
	;; [unrolled: 1-line block ×4, first 2 shown]
	v_mul_f64 v[182:183], v[223:224], s[36:37]
	v_mul_f64 v[223:224], v[223:224], s[18:19]
	v_add_f64 v[6:7], v[194:195], v[6:7]
	v_add_f64 v[0:1], v[202:203], v[0:1]
	;; [unrolled: 1-line block ×3, first 2 shown]
	v_add_f64 v[26:27], v[239:240], -v[219:220]
	v_add_f64 v[6:7], v[6:7], v[148:149]
	s_waitcnt vmcnt(2)
	v_add_f64 v[4:5], v[4:5], -v[176:177]
	s_waitcnt vmcnt(0)
	v_add_f64 v[14:15], v[14:15], -v[30:31]
	buffer_load_dword v30, off, s[48:51], 0 offset:244 ; 4-byte Folded Reload
	buffer_load_dword v31, off, s[48:51], 0 offset:248 ; 4-byte Folded Reload
	;; [unrolled: 1-line block ×6, first 2 shown]
	v_add_f64 v[4:5], v[4:5], v[10:11]
	buffer_load_dword v10, off, s[48:51], 0 offset:436 ; 4-byte Folded Reload
	buffer_load_dword v11, off, s[48:51], 0 offset:440 ; 4-byte Folded Reload
	v_add_f64 v[14:15], v[174:175], v[14:15]
	v_add_f64 v[4:5], v[26:27], v[4:5]
	v_add_f64 v[26:27], v[233:234], -v[208:209]
	s_waitcnt vmcnt(6)
	v_add_f64 v[30:31], v[174:175], v[30:31]
	s_waitcnt vmcnt(4)
	v_add_f64 v[38:39], v[172:173], v[38:39]
	;; [unrolled: 2-line block ×3, first 2 shown]
	s_waitcnt vmcnt(0)
	v_add_f64 v[10:11], v[10:11], -v[32:33]
	buffer_load_dword v32, off, s[48:51], 0 offset:204 ; 4-byte Folded Reload
	buffer_load_dword v33, off, s[48:51], 0 offset:208 ; 4-byte Folded Reload
	v_add_f64 v[28:29], v[172:173], v[28:29]
	v_add_f64 v[10:11], v[10:11], v[14:15]
	;; [unrolled: 1-line block ×3, first 2 shown]
	s_waitcnt vmcnt(0)
	v_add_f64 v[30:31], v[30:31], v[32:33]
	buffer_load_dword v32, off, s[48:51], 0 offset:188 ; 4-byte Folded Reload
	buffer_load_dword v33, off, s[48:51], 0 offset:192 ; 4-byte Folded Reload
	s_waitcnt vmcnt(0)
	v_add_f64 v[32:33], v[38:39], v[32:33]
	v_add_f64 v[38:39], v[168:169], -v[206:207]
	buffer_load_dword v168, off, s[48:51], 0 offset:452 ; 4-byte Folded Reload
	buffer_load_dword v169, off, s[48:51], 0 offset:456 ; 4-byte Folded Reload
	;; [unrolled: 1-line block ×4, first 2 shown]
	v_add_f64 v[4:5], v[38:39], v[4:5]
	v_add_f64 v[38:39], v[144:145], v[162:163]
	s_waitcnt vmcnt(2)
	v_add_f64 v[36:37], v[36:37], v[168:169]
	s_waitcnt vmcnt(0)
	v_add_f64 v[14:15], v[30:31], v[14:15]
	buffer_load_dword v30, off, s[48:51], 0 offset:196 ; 4-byte Folded Reload
	buffer_load_dword v31, off, s[48:51], 0 offset:200 ; 4-byte Folded Reload
	;; [unrolled: 1-line block ×4, first 2 shown]
	v_add_f64 v[28:29], v[36:37], v[28:29]
	v_add_f64 v[36:37], v[160:161], -v[227:228]
	v_add_f64 v[10:11], v[36:37], v[10:11]
	s_waitcnt vmcnt(2)
	v_add_f64 v[30:31], v[32:33], v[30:31]
	s_waitcnt vmcnt(0)
	v_add_f64 v[14:15], v[14:15], v[26:27]
	buffer_load_dword v26, off, s[48:51], 0 offset:212 ; 4-byte Folded Reload
	buffer_load_dword v27, off, s[48:51], 0 offset:216 ; 4-byte Folded Reload
	;; [unrolled: 1-line block ×4, first 2 shown]
	v_add_f64 v[32:33], v[214:215], -v[142:143]
	v_add_f64 v[142:143], v[186:187], v[235:236]
	v_add_f64 v[4:5], v[32:33], v[4:5]
	v_add_f64 v[32:33], v[178:179], -v[204:205]
	v_add_f64 v[28:29], v[142:143], v[28:29]
	v_add_f64 v[142:143], v[164:165], v[180:181]
	v_add_f64 v[10:11], v[32:33], v[10:11]
	v_add_f64 v[28:29], v[38:39], v[28:29]
	v_add_f64 v[38:39], v[192:193], -v[182:183]
	v_add_f64 v[142:143], v[142:143], v[28:29]
	s_waitcnt vmcnt(2)
	v_add_f64 v[26:27], v[30:31], v[26:27]
	s_waitcnt vmcnt(0)
	v_add_f64 v[14:15], v[14:15], v[36:37]
	buffer_load_dword v36, off, s[48:51], 0 offset:228 ; 4-byte Folded Reload
	buffer_load_dword v37, off, s[48:51], 0 offset:232 ; 4-byte Folded Reload
	;; [unrolled: 1-line block ×6, first 2 shown]
	v_add_f64 v[30:31], v[225:226], -v[223:224]
	s_waitcnt vmcnt(4)
	v_add_f64 v[26:27], v[26:27], v[36:37]
	s_waitcnt vmcnt(2)
	v_add_f64 v[140:141], v[144:145], -v[140:141]
	s_waitcnt vmcnt(0)
	v_add_f64 v[14:15], v[14:15], v[32:33]
	buffer_load_dword v32, off, s[48:51], 0 offset:300 ; 4-byte Folded Reload
	buffer_load_dword v33, off, s[48:51], 0 offset:304 ; 4-byte Folded Reload
	v_add_f64 v[36:37], v[198:199], v[200:201]
	v_add_f64 v[140:141], v[174:175], v[140:141]
	s_waitcnt vmcnt(0)
	v_add_f64 v[26:27], v[26:27], v[32:33]
	buffer_load_dword v32, off, s[48:51], 0 offset:364 ; 4-byte Folded Reload
	buffer_load_dword v33, off, s[48:51], 0 offset:368 ; 4-byte Folded Reload
	s_waitcnt vmcnt(0)
	v_add_f64 v[32:33], v[136:137], v[32:33]
	buffer_load_dword v136, off, s[48:51], 0 offset:380 ; 4-byte Folded Reload
	buffer_load_dword v137, off, s[48:51], 0 offset:384 ; 4-byte Folded Reload
	v_add_f64 v[32:33], v[172:173], v[32:33]
	s_waitcnt vmcnt(0)
	v_add_f64 v[24:25], v[24:25], v[136:137]
	buffer_load_dword v136, off, s[48:51], 0 offset:428 ; 4-byte Folded Reload
	buffer_load_dword v137, off, s[48:51], 0 offset:432 ; 4-byte Folded Reload
	v_add_f64 v[24:25], v[172:173], v[24:25]
	s_waitcnt vmcnt(0)
	v_add_f64 v[20:21], v[20:21], v[136:137]
	buffer_load_dword v136, off, s[48:51], 0 offset:420 ; 4-byte Folded Reload
	buffer_load_dword v137, off, s[48:51], 0 offset:424 ; 4-byte Folded Reload
	;; [unrolled: 1-line block ×4, first 2 shown]
	v_add_f64 v[20:21], v[20:21], v[24:25]
	v_add_f64 v[24:25], v[150:151], v[158:159]
	;; [unrolled: 1-line block ×3, first 2 shown]
	v_add_f64 v[34:35], v[138:139], -v[196:197]
	v_add_f64 v[138:139], v[221:222], v[212:213]
	v_add_f64 v[20:21], v[24:25], v[20:21]
	;; [unrolled: 1-line block ×3, first 2 shown]
	s_waitcnt vmcnt(2)
	v_add_f64 v[136:137], v[136:137], -v[166:167]
	s_waitcnt vmcnt(0)
	v_add_f64 v[144:145], v[154:155], v[144:145]
	buffer_load_dword v154, off, s[48:51], 0 offset:356 ; 4-byte Folded Reload
	buffer_load_dword v155, off, s[48:51], 0 offset:360 ; 4-byte Folded Reload
	v_add_f64 v[136:137], v[136:137], v[140:141]
	v_add_f64 v[32:33], v[144:145], v[32:33]
	;; [unrolled: 1-line block ×3, first 2 shown]
	s_waitcnt vmcnt(0)
	v_add_f64 v[14:15], v[14:15], v[154:155]
	buffer_load_dword v154, off, s[48:51], 0 offset:340 ; 4-byte Folded Reload
	buffer_load_dword v155, off, s[48:51], 0 offset:344 ; 4-byte Folded Reload
	s_waitcnt vmcnt(0)
	v_add_f64 v[26:27], v[26:27], v[154:155]
	buffer_load_dword v154, off, s[48:51], 0 offset:492 ; 4-byte Folded Reload
	buffer_load_dword v155, off, s[48:51], 0 offset:496 ; 4-byte Folded Reload
	;; [unrolled: 1-line block ×4, first 2 shown]
	s_waitcnt vmcnt(2)
	v_add_f64 v[154:155], v[154:155], -v[210:211]
	s_waitcnt vmcnt(0)
	v_add_f64 v[12:13], v[12:13], v[140:141]
	buffer_load_dword v140, off, s[48:51], 0 offset:348 ; 4-byte Folded Reload
	buffer_load_dword v141, off, s[48:51], 0 offset:352 ; 4-byte Folded Reload
	v_add_f64 v[136:137], v[154:155], v[136:137]
	v_add_f64 v[12:13], v[12:13], v[32:33]
	;; [unrolled: 1-line block ×8, first 2 shown]
	s_waitcnt vmcnt(0)
	v_add_f64 v[14:15], v[14:15], v[140:141]
	buffer_load_dword v140, off, s[48:51], 0 offset:324 ; 4-byte Folded Reload
	buffer_load_dword v141, off, s[48:51], 0 offset:328 ; 4-byte Folded Reload
	buffer_load_dword v150, off, s[48:51], 0 offset:316 ; 4-byte Folded Reload
	buffer_load_dword v151, off, s[48:51], 0 offset:320 ; 4-byte Folded Reload
	s_waitcnt vmcnt(2)
	v_add_f64 v[26:27], v[26:27], v[140:141]
	v_add_f64 v[140:141], v[152:153], -v[170:171]
	s_waitcnt vmcnt(0)
	v_add_f64 v[14:15], v[14:15], v[150:151]
	buffer_load_dword v150, off, s[48:51], 0 offset:308 ; 4-byte Folded Reload
	buffer_load_dword v151, off, s[48:51], 0 offset:312 ; 4-byte Folded Reload
	v_add_f64 v[136:137], v[140:141], v[136:137]
	buffer_load_dword v140, off, s[48:51], 0 offset:292 ; 4-byte Folded Reload
	buffer_load_dword v141, off, s[48:51], 0 offset:296 ; 4-byte Folded Reload
	v_add_f64 v[34:35], v[34:35], v[136:137]
	v_add_f64 v[136:137], v[241:242], v[188:189]
	;; [unrolled: 1-line block ×3, first 2 shown]
	s_waitcnt vmcnt(2)
	v_add_f64 v[26:27], v[26:27], v[150:151]
	s_waitcnt vmcnt(0)
	v_add_f64 v[14:15], v[14:15], v[140:141]
	buffer_load_dword v140, off, s[48:51], 0 offset:276 ; 4-byte Folded Reload
	buffer_load_dword v141, off, s[48:51], 0 offset:280 ; 4-byte Folded Reload
	buffer_load_dword v144, off, s[48:51], 0 offset:268 ; 4-byte Folded Reload
	buffer_load_dword v145, off, s[48:51], 0 offset:272 ; 4-byte Folded Reload
	s_waitcnt vmcnt(2)
	v_add_f64 v[26:27], v[26:27], v[140:141]
	s_waitcnt vmcnt(0)
	v_add_f64 v[14:15], v[14:15], v[144:145]
	buffer_load_dword v144, off, s[48:51], 0 offset:260 ; 4-byte Folded Reload
	buffer_load_dword v145, off, s[48:51], 0 offset:264 ; 4-byte Folded Reload
	;; [unrolled: 1-line block ×4, first 2 shown]
	v_add_f64 v[140:141], v[190:191], -v[243:244]
	v_add_f64 v[30:31], v[140:141], v[34:35]
	v_add_f64 v[34:35], v[14:15], v[146:147]
	s_waitcnt vmcnt(2)
	v_add_f64 v[144:145], v[26:27], v[144:145]
	v_add_f64 v[26:27], v[38:39], v[10:11]
	;; [unrolled: 1-line block ×3, first 2 shown]
	s_waitcnt vmcnt(0)
	v_add_f64 v[32:33], v[144:145], v[4:5]
	buffer_load_dword v4, off, s[48:51], 0 offset:172 ; 4-byte Folded Reload
	buffer_load_dword v5, off, s[48:51], 0 offset:176 ; 4-byte Folded Reload
	s_waitcnt vmcnt(1)
	v_mul_u32_u24_e32 v4, 0x82, v4
	s_waitcnt vmcnt(0)
	v_add_lshl_u32 v4, v4, v5, 4
	ds_write_b128 v4, v[32:35]
	ds_write_b128 v4, v[28:31] offset:160
	ds_write_b128 v4, v[24:27] offset:320
	;; [unrolled: 1-line block ×12, first 2 shown]
.LBB0_13:
	s_or_b64 exec, exec, s[46:47]
	s_waitcnt lgkmcnt(0)
	s_barrier
	ds_read_b128 v[136:139], v255
	ds_read_b128 v[160:163], v255 offset:4160
	ds_read_b128 v[156:159], v255 offset:8320
	;; [unrolled: 1-line block ×6, first 2 shown]
	s_and_saveexec_b64 s[2:3], s[0:1]
	s_cbranch_execz .LBB0_15
; %bb.14:
	ds_read_b128 v[124:127], v255 offset:2912
	ds_read_b128 v[128:131], v255 offset:7072
	;; [unrolled: 1-line block ×7, first 2 shown]
.LBB0_15:
	s_or_b64 exec, exec, s[2:3]
	s_waitcnt lgkmcnt(5)
	v_mul_f64 v[0:1], v[78:79], v[162:163]
	v_mul_f64 v[2:3], v[78:79], v[160:161]
	s_waitcnt lgkmcnt(4)
	v_mul_f64 v[4:5], v[74:75], v[158:159]
	v_mul_f64 v[6:7], v[74:75], v[156:157]
	;; [unrolled: 3-line block ×3, first 2 shown]
	v_mul_f64 v[16:17], v[86:87], v[150:151]
	v_mul_f64 v[18:19], v[86:87], v[148:149]
	v_fma_f64 v[0:1], v[76:77], v[160:161], v[0:1]
	v_fma_f64 v[2:3], v[76:77], v[162:163], -v[2:3]
	v_fma_f64 v[4:5], v[72:73], v[156:157], v[4:5]
	v_fma_f64 v[6:7], v[72:73], v[158:159], -v[6:7]
	v_mul_f64 v[12:13], v[70:71], v[146:147]
	v_mul_f64 v[14:15], v[70:71], v[144:145]
	;; [unrolled: 1-line block ×4, first 2 shown]
	v_fma_f64 v[8:9], v[80:81], v[152:153], v[8:9]
	v_fma_f64 v[10:11], v[80:81], v[154:155], -v[10:11]
	v_fma_f64 v[16:17], v[84:85], v[148:149], v[16:17]
	v_fma_f64 v[18:19], v[84:85], v[150:151], -v[18:19]
	;; [unrolled: 2-line block ×4, first 2 shown]
	v_add_f64 v[26:27], v[0:1], v[8:9]
	v_add_f64 v[28:29], v[2:3], v[10:11]
	v_add_f64 v[0:1], v[0:1], -v[8:9]
	v_add_f64 v[2:3], v[2:3], -v[10:11]
	v_add_f64 v[8:9], v[4:5], v[16:17]
	v_add_f64 v[10:11], v[6:7], v[18:19]
	v_add_f64 v[4:5], v[4:5], -v[16:17]
	v_add_f64 v[6:7], v[6:7], -v[18:19]
	;; [unrolled: 4-line block ×4, first 2 shown]
	v_add_f64 v[26:27], v[26:27], -v[16:17]
	v_add_f64 v[28:29], v[28:29], -v[18:19]
	;; [unrolled: 1-line block ×4, first 2 shown]
	v_add_f64 v[34:35], v[12:13], v[4:5]
	v_add_f64 v[36:37], v[14:15], v[6:7]
	v_add_f64 v[38:39], v[12:13], -v[4:5]
	v_add_f64 v[64:65], v[14:15], -v[6:7]
	v_add_f64 v[16:17], v[16:17], v[20:21]
	v_add_f64 v[18:19], v[18:19], v[24:25]
	v_add_f64 v[4:5], v[4:5], -v[0:1]
	v_add_f64 v[6:7], v[6:7], -v[2:3]
	s_mov_b32 s14, 0x37e14327
	s_mov_b32 s4, 0x36b3c0b5
	;; [unrolled: 1-line block ×7, first 2 shown]
	v_add_f64 v[12:13], v[0:1], -v[12:13]
	v_add_f64 v[14:15], v[2:3], -v[14:15]
	v_add_f64 v[20:21], v[34:35], v[0:1]
	v_add_f64 v[24:25], v[36:37], v[2:3]
	;; [unrolled: 1-line block ×4, first 2 shown]
	v_mul_f64 v[26:27], v[26:27], s[14:15]
	v_mul_f64 v[28:29], v[28:29], s[14:15]
	;; [unrolled: 1-line block ×6, first 2 shown]
	s_mov_b32 s3, 0xbfebfeb5
	v_mul_f64 v[66:67], v[4:5], s[2:3]
	v_mul_f64 v[68:69], v[6:7], s[2:3]
	s_mov_b32 s24, 0xaaaaaaaa
	s_mov_b32 s12, 0x5476071b
	;; [unrolled: 1-line block ×8, first 2 shown]
	v_fma_f64 v[16:17], v[16:17], s[24:25], v[0:1]
	v_fma_f64 v[18:19], v[18:19], s[24:25], v[2:3]
	;; [unrolled: 1-line block ×4, first 2 shown]
	v_fma_f64 v[34:35], v[30:31], s[12:13], -v[34:35]
	v_fma_f64 v[36:37], v[32:33], s[12:13], -v[36:37]
	;; [unrolled: 1-line block ×4, first 2 shown]
	v_fma_f64 v[30:31], v[12:13], s[26:27], v[38:39]
	v_fma_f64 v[32:33], v[14:15], s[26:27], v[64:65]
	s_mov_b32 s23, 0x3fd5d0dc
	s_mov_b32 s22, s26
	v_fma_f64 v[12:13], v[12:13], s[22:23], -v[66:67]
	v_fma_f64 v[14:15], v[14:15], s[22:23], -v[68:69]
	;; [unrolled: 1-line block ×4, first 2 shown]
	s_mov_b32 s20, 0x37c3f68c
	s_mov_b32 s21, 0xbfdc38aa
	v_add_f64 v[38:39], v[8:9], v[16:17]
	v_add_f64 v[64:65], v[10:11], v[18:19]
	v_fma_f64 v[32:33], v[24:25], s[20:21], v[32:33]
	v_fma_f64 v[30:31], v[20:21], s[20:21], v[30:31]
	v_add_f64 v[26:27], v[26:27], v[16:17]
	v_add_f64 v[28:29], v[28:29], v[18:19]
	v_fma_f64 v[66:67], v[24:25], s[20:21], v[14:15]
	v_fma_f64 v[68:69], v[20:21], s[20:21], v[12:13]
	;; [unrolled: 4-line block ×3, first 2 shown]
	v_add_f64 v[4:5], v[32:33], v[38:39]
	v_add_f64 v[6:7], v[64:65], -v[30:31]
	v_add_f64 v[8:9], v[66:67], v[26:27]
	v_add_f64 v[10:11], v[28:29], -v[68:69]
	v_add_f64 v[24:25], v[26:27], -v[66:67]
	v_add_f64 v[26:27], v[68:69], v[28:29]
	v_add_f64 v[12:13], v[34:35], -v[16:17]
	v_add_f64 v[14:15], v[18:19], v[36:37]
	v_add_f64 v[16:17], v[16:17], v[34:35]
	v_add_f64 v[18:19], v[36:37], -v[18:19]
	v_add_f64 v[28:29], v[38:39], -v[32:33]
	v_add_f64 v[30:31], v[30:31], v[64:65]
	s_barrier
	ds_write_b128 v23, v[0:3]
	ds_write_b128 v23, v[4:7] offset:2080
	ds_write_b128 v23, v[8:11] offset:4160
	ds_write_b128 v23, v[12:15] offset:6240
	ds_write_b128 v23, v[16:19] offset:8320
	ds_write_b128 v23, v[24:27] offset:10400
	ds_write_b128 v23, v[28:31] offset:12480
	s_and_saveexec_b64 s[28:29], s[0:1]
	s_cbranch_execz .LBB0_17
; %bb.16:
	v_mul_f64 v[0:1], v[42:43], v[118:119]
	v_mul_f64 v[2:3], v[46:47], v[122:123]
	;; [unrolled: 1-line block ×10, first 2 shown]
	v_fma_f64 v[0:1], v[40:41], v[116:117], v[0:1]
	v_fma_f64 v[2:3], v[44:45], v[120:121], v[2:3]
	v_fma_f64 v[8:9], v[56:57], v[110:111], -v[8:9]
	v_fma_f64 v[10:11], v[48:49], v[130:131], -v[10:11]
	v_mul_f64 v[20:21], v[46:47], v[120:121]
	v_mul_f64 v[23:24], v[42:43], v[116:117]
	v_fma_f64 v[12:13], v[60:61], v[114:115], -v[12:13]
	v_fma_f64 v[14:15], v[52:53], v[134:135], -v[14:15]
	v_fma_f64 v[16:17], v[52:53], v[132:133], v[16:17]
	v_fma_f64 v[18:19], v[60:61], v[112:113], v[18:19]
	;; [unrolled: 1-line block ×4, first 2 shown]
	v_fma_f64 v[20:21], v[44:45], v[122:123], -v[20:21]
	v_fma_f64 v[23:24], v[40:41], v[118:119], -v[23:24]
	v_add_f64 v[25:26], v[10:11], v[8:9]
	v_add_f64 v[27:28], v[14:15], v[12:13]
	v_add_f64 v[29:30], v[0:1], -v[2:3]
	v_add_f64 v[31:32], v[16:17], -v[18:19]
	v_add_f64 v[16:17], v[16:17], v[18:19]
	v_add_f64 v[37:38], v[4:5], -v[6:7]
	v_add_f64 v[4:5], v[4:5], v[6:7]
	v_add_f64 v[33:34], v[20:21], v[23:24]
	;; [unrolled: 1-line block ×4, first 2 shown]
	v_add_f64 v[20:21], v[23:24], -v[20:21]
	v_add_f64 v[39:40], v[29:30], -v[31:32]
	;; [unrolled: 1-line block ×4, first 2 shown]
	v_add_f64 v[41:42], v[16:17], v[4:5]
	v_add_f64 v[6:7], v[25:26], -v[33:34]
	v_add_f64 v[10:11], v[4:5], -v[43:44]
	v_add_f64 v[18:19], v[33:34], v[35:36]
	v_add_f64 v[35:36], v[37:38], -v[29:30]
	v_mul_f64 v[39:40], v[39:40], s[16:17]
	v_add_f64 v[29:30], v[29:30], v[31:32]
	v_add_f64 v[14:15], v[31:32], -v[37:38]
	v_add_f64 v[49:50], v[12:13], -v[8:9]
	v_mul_f64 v[45:46], v[6:7], s[14:15]
	v_add_f64 v[6:7], v[33:34], -v[27:28]
	v_add_f64 v[2:3], v[126:127], v[18:19]
	v_add_f64 v[33:34], v[43:44], v[41:42]
	v_fma_f64 v[41:42], v[35:36], s[26:27], v[39:40]
	v_add_f64 v[29:30], v[29:30], v[37:38]
	v_add_f64 v[37:38], v[43:44], -v[16:17]
	v_add_f64 v[25:26], v[27:28], -v[25:26]
	v_mul_f64 v[10:11], v[10:11], s[14:15]
	v_fma_f64 v[47:48], v[6:7], s[4:5], v[45:46]
	v_fma_f64 v[18:19], v[18:19], s[24:25], v[2:3]
	v_add_f64 v[0:1], v[124:125], v[33:34]
	v_mul_f64 v[43:44], v[14:15], s[2:3]
	v_fma_f64 v[23:24], v[29:30], s[20:21], v[41:42]
	v_add_f64 v[41:42], v[20:21], -v[12:13]
	v_add_f64 v[12:13], v[20:21], v[12:13]
	v_add_f64 v[4:5], v[16:17], -v[4:5]
	v_mul_f64 v[16:17], v[49:50], s[2:3]
	v_add_f64 v[31:32], v[47:48], v[18:19]
	v_add_f64 v[47:48], v[8:9], -v[20:21]
	v_mul_f64 v[27:28], v[6:7], s[4:5]
	v_mul_f64 v[20:21], v[37:38], s[4:5]
	;; [unrolled: 1-line block ×3, first 2 shown]
	v_fma_f64 v[33:34], v[33:34], s[24:25], v[0:1]
	v_fma_f64 v[37:38], v[37:38], s[4:5], v[10:11]
	v_fma_f64 v[35:36], v[35:36], s[22:23], -v[43:44]
	v_fma_f64 v[43:44], v[25:26], s[18:19], -v[45:46]
	v_add_f64 v[8:9], v[12:13], v[8:9]
	v_fma_f64 v[10:11], v[4:5], s[18:19], -v[10:11]
	v_fma_f64 v[16:17], v[47:48], s[22:23], -v[16:17]
	v_fma_f64 v[45:46], v[47:48], s[26:27], v[41:42]
	v_fma_f64 v[12:13], v[25:26], s[12:13], -v[27:28]
	v_fma_f64 v[14:15], v[14:15], s[2:3], -v[39:40]
	;; [unrolled: 1-line block ×4, first 2 shown]
	v_fma_f64 v[25:26], v[29:30], s[20:21], v[35:36]
	v_add_f64 v[27:28], v[43:44], v[18:19]
	v_add_f64 v[35:36], v[37:38], v[33:34]
	v_fma_f64 v[37:38], v[8:9], s[20:21], v[45:46]
	v_add_f64 v[39:40], v[10:11], v[33:34]
	v_fma_f64 v[41:42], v[8:9], s[20:21], v[16:17]
	;; [unrolled: 2-line block ×4, first 2 shown]
	v_add_f64 v[10:11], v[25:26], v[27:28]
	v_add_f64 v[25:26], v[27:28], -v[25:26]
	v_add_f64 v[29:30], v[31:32], -v[23:24]
	v_add_f64 v[27:28], v[37:38], v[35:36]
	v_add_f64 v[6:7], v[23:24], v[31:32]
	v_add_f64 v[23:24], v[41:42], v[39:40]
	v_add_f64 v[14:15], v[12:13], -v[18:19]
	v_add_f64 v[18:19], v[18:19], v[12:13]
	v_add_f64 v[16:17], v[4:5], -v[8:9]
	v_add_f64 v[12:13], v[8:9], v[4:5]
	v_add_f64 v[8:9], v[39:40], -v[41:42]
	v_add_f64 v[4:5], v[35:36], -v[37:38]
	ds_write_b128 v22, v[0:3] offset:14560
	ds_write_b128 v22, v[27:30] offset:16640
	;; [unrolled: 1-line block ×7, first 2 shown]
.LBB0_17:
	s_or_b64 exec, exec, s[28:29]
	s_waitcnt lgkmcnt(0)
	s_barrier
	ds_read_b128 v[0:3], v255 offset:14560
	ds_read_b128 v[4:7], v255
	ds_read_b128 v[8:11], v255 offset:2912
	ds_read_b128 v[12:15], v255 offset:17472
	;; [unrolled: 1-line block ×4, first 2 shown]
	s_waitcnt lgkmcnt(5)
	v_mul_f64 v[40:41], v[90:91], v[2:3]
	v_mul_f64 v[42:43], v[90:91], v[0:1]
	s_waitcnt lgkmcnt(2)
	v_mul_f64 v[44:45], v[98:99], v[14:15]
	v_mul_f64 v[46:47], v[98:99], v[12:13]
	ds_read_b128 v[24:27], v255 offset:5824
	ds_read_b128 v[28:31], v255 offset:8736
	;; [unrolled: 1-line block ×4, first 2 shown]
	s_mul_i32 s2, s9, 0xb60
	s_mul_hi_u32 s3, s8, 0xb60
	s_add_i32 s2, s3, s2
	v_fma_f64 v[0:1], v[88:89], v[0:1], v[40:41]
	v_fma_f64 v[2:3], v[88:89], v[2:3], -v[42:43]
	s_waitcnt lgkmcnt(5)
	v_mul_f64 v[40:41], v[94:95], v[18:19]
	v_mul_f64 v[42:43], v[94:95], v[16:17]
	v_fma_f64 v[12:13], v[96:97], v[12:13], v[44:45]
	v_fma_f64 v[14:15], v[96:97], v[14:15], -v[46:47]
	s_waitcnt lgkmcnt(1)
	v_mul_f64 v[44:45], v[102:103], v[34:35]
	v_mul_f64 v[46:47], v[102:103], v[32:33]
	s_waitcnt lgkmcnt(0)
	v_mul_f64 v[48:49], v[106:107], v[38:39]
	v_mul_f64 v[50:51], v[106:107], v[36:37]
	v_fma_f64 v[16:17], v[92:93], v[16:17], v[40:41]
	v_fma_f64 v[18:19], v[92:93], v[18:19], -v[42:43]
	v_add_f64 v[0:1], v[4:5], -v[0:1]
	v_add_f64 v[2:3], v[6:7], -v[2:3]
	v_fma_f64 v[32:33], v[100:101], v[32:33], v[44:45]
	v_fma_f64 v[34:35], v[100:101], v[34:35], -v[46:47]
	v_fma_f64 v[36:37], v[104:105], v[36:37], v[48:49]
	v_fma_f64 v[38:39], v[104:105], v[38:39], -v[50:51]
	v_add_f64 v[12:13], v[8:9], -v[12:13]
	v_add_f64 v[14:15], v[10:11], -v[14:15]
	;; [unrolled: 1-line block ×6, first 2 shown]
	v_fma_f64 v[4:5], v[4:5], 2.0, -v[0:1]
	v_fma_f64 v[6:7], v[6:7], 2.0, -v[2:3]
	v_add_f64 v[36:37], v[20:21], -v[36:37]
	v_add_f64 v[38:39], v[22:23], -v[38:39]
	v_fma_f64 v[8:9], v[8:9], 2.0, -v[12:13]
	v_fma_f64 v[10:11], v[10:11], 2.0, -v[14:15]
	v_fma_f64 v[24:25], v[24:25], 2.0, -v[16:17]
	v_fma_f64 v[26:27], v[26:27], 2.0, -v[18:19]
	v_fma_f64 v[28:29], v[28:29], 2.0, -v[32:33]
	v_fma_f64 v[30:31], v[30:31], 2.0, -v[34:35]
	v_fma_f64 v[20:21], v[20:21], 2.0, -v[36:37]
	v_fma_f64 v[22:23], v[22:23], 2.0, -v[38:39]
	ds_write_b128 v255, v[4:7]
	ds_write_b128 v255, v[0:3] offset:14560
	ds_write_b128 v255, v[8:11] offset:2912
	;; [unrolled: 1-line block ×9, first 2 shown]
	s_waitcnt lgkmcnt(0)
	s_barrier
	ds_read_b128 v[0:3], v255
	buffer_load_dword v4, off, s[48:51], 0 offset:4 ; 4-byte Folded Reload
	buffer_load_dword v5, off, s[48:51], 0 offset:8 ; 4-byte Folded Reload
	s_mul_i32 s3, s8, 0xb60
	s_waitcnt vmcnt(1)
	v_mov_b32_e32 v14, v4
	s_waitcnt vmcnt(0)
	ds_read_b128 v[4:7], v255 offset:2912
	buffer_load_dword v18, off, s[48:51], 0 offset:140 ; 4-byte Folded Reload
	buffer_load_dword v19, off, s[48:51], 0 offset:144 ; 4-byte Folded Reload
	;; [unrolled: 1-line block ×4, first 2 shown]
	buffer_load_dword v17, off, s[48:51], 0 ; 4-byte Folded Reload
	v_mad_u64_u32 v[8:9], s[0:1], s10, v14, 0
	s_waitcnt vmcnt(1) lgkmcnt(1)
	v_mul_f64 v[10:11], v[20:21], v[2:3]
	v_mul_f64 v[12:13], v[20:21], v[0:1]
	v_fma_f64 v[0:1], v[18:19], v[0:1], v[10:11]
	v_fma_f64 v[2:3], v[18:19], v[2:3], -v[12:13]
	buffer_load_dword v19, off, s[48:51], 0 offset:76 ; 4-byte Folded Reload
	buffer_load_dword v20, off, s[48:51], 0 offset:80 ; 4-byte Folded Reload
	;; [unrolled: 1-line block ×4, first 2 shown]
	v_mad_u64_u32 v[14:15], s[0:1], s11, v14, v[9:10]
	s_waitcnt vmcnt(4)
	v_mad_u64_u32 v[15:16], s[0:1], s8, v17, 0
	v_mov_b32_e32 v9, v14
	v_lshlrev_b64 v[8:9], 4, v[8:9]
	v_mov_b32_e32 v10, v16
	v_mad_u64_u32 v[10:11], s[0:1], s9, v17, v[10:11]
	s_mov_b32 s0, 0x12012012
	s_mov_b32 s1, 0x3f420120
	v_mov_b32_e32 v16, v10
	v_mul_f64 v[0:1], v[0:1], s[0:1]
	v_mul_f64 v[2:3], v[2:3], s[0:1]
	v_mov_b32_e32 v14, s7
	v_add_co_u32_e32 v17, vcc, s6, v8
	v_addc_co_u32_e32 v18, vcc, v14, v9, vcc
	v_lshlrev_b64 v[8:9], 4, v[15:16]
	v_add_co_u32_e32 v14, vcc, v17, v8
	v_addc_co_u32_e32 v15, vcc, v18, v9, vcc
	global_store_dwordx4 v[14:15], v[0:3], off
	v_add_co_u32_e32 v14, vcc, s3, v14
	s_waitcnt vmcnt(1) lgkmcnt(0)
	v_mul_f64 v[10:11], v[21:22], v[6:7]
	v_mul_f64 v[12:13], v[21:22], v[4:5]
	v_fma_f64 v[10:11], v[19:20], v[4:5], v[10:11]
	v_fma_f64 v[12:13], v[19:20], v[6:7], -v[12:13]
	ds_read_b128 v[4:7], v255 offset:5824
	v_mov_b32_e32 v20, s2
	v_addc_co_u32_e32 v15, vcc, v15, v20, vcc
	v_mul_f64 v[0:1], v[10:11], s[0:1]
	ds_read_b128 v[8:11], v255 offset:8736
	buffer_load_dword v21, off, s[48:51], 0 offset:28 ; 4-byte Folded Reload
	buffer_load_dword v22, off, s[48:51], 0 offset:32 ; 4-byte Folded Reload
	buffer_load_dword v23, off, s[48:51], 0 offset:36 ; 4-byte Folded Reload
	buffer_load_dword v24, off, s[48:51], 0 offset:40 ; 4-byte Folded Reload
	v_mul_f64 v[2:3], v[12:13], s[0:1]
	s_waitcnt vmcnt(0) lgkmcnt(1)
	v_mul_f64 v[16:17], v[23:24], v[6:7]
	v_mul_f64 v[18:19], v[23:24], v[4:5]
	buffer_load_dword v23, off, s[48:51], 0 offset:124 ; 4-byte Folded Reload
	buffer_load_dword v24, off, s[48:51], 0 offset:128 ; 4-byte Folded Reload
	;; [unrolled: 1-line block ×4, first 2 shown]
	v_fma_f64 v[4:5], v[21:22], v[4:5], v[16:17]
	v_fma_f64 v[6:7], v[21:22], v[6:7], -v[18:19]
	global_store_dwordx4 v[14:15], v[0:3], off
	v_mov_b32_e32 v22, s2
	v_add_co_u32_e32 v14, vcc, s3, v14
	v_addc_co_u32_e32 v15, vcc, v15, v22, vcc
	v_mul_f64 v[0:1], v[4:5], s[0:1]
	v_mul_f64 v[2:3], v[6:7], s[0:1]
	ds_read_b128 v[4:7], v255 offset:11648
	s_waitcnt vmcnt(1) lgkmcnt(1)
	v_mul_f64 v[12:13], v[25:26], v[10:11]
	v_mul_f64 v[16:17], v[25:26], v[8:9]
	v_fma_f64 v[12:13], v[23:24], v[8:9], v[12:13]
	v_fma_f64 v[16:17], v[23:24], v[10:11], -v[16:17]
	ds_read_b128 v[8:11], v255 offset:14560
	buffer_load_dword v23, off, s[48:51], 0 offset:44 ; 4-byte Folded Reload
	buffer_load_dword v24, off, s[48:51], 0 offset:48 ; 4-byte Folded Reload
	buffer_load_dword v25, off, s[48:51], 0 offset:52 ; 4-byte Folded Reload
	buffer_load_dword v26, off, s[48:51], 0 offset:56 ; 4-byte Folded Reload
	s_waitcnt vmcnt(0) lgkmcnt(1)
	v_mul_f64 v[18:19], v[25:26], v[6:7]
	v_mul_f64 v[20:21], v[25:26], v[4:5]
	global_store_dwordx4 v[14:15], v[0:3], off
	v_add_co_u32_e32 v14, vcc, s3, v14
	v_mul_f64 v[0:1], v[12:13], s[0:1]
	v_mul_f64 v[2:3], v[16:17], s[0:1]
	v_addc_co_u32_e32 v15, vcc, v15, v22, vcc
	v_fma_f64 v[4:5], v[23:24], v[4:5], v[18:19]
	v_fma_f64 v[6:7], v[23:24], v[6:7], -v[20:21]
	buffer_load_dword v18, off, s[48:51], 0 offset:60 ; 4-byte Folded Reload
	buffer_load_dword v19, off, s[48:51], 0 offset:64 ; 4-byte Folded Reload
	;; [unrolled: 1-line block ×4, first 2 shown]
	s_waitcnt vmcnt(0) lgkmcnt(0)
	v_mul_f64 v[12:13], v[20:21], v[10:11]
	v_mul_f64 v[16:17], v[20:21], v[8:9]
	global_store_dwordx4 v[14:15], v[0:3], off
	v_add_co_u32_e32 v14, vcc, s3, v14
	v_mul_f64 v[0:1], v[4:5], s[0:1]
	v_mul_f64 v[2:3], v[6:7], s[0:1]
	ds_read_b128 v[4:7], v255 offset:17472
	v_fma_f64 v[12:13], v[18:19], v[8:9], v[12:13]
	v_fma_f64 v[16:17], v[18:19], v[10:11], -v[16:17]
	ds_read_b128 v[8:11], v255 offset:20384
	buffer_load_dword v23, off, s[48:51], 0 offset:156 ; 4-byte Folded Reload
	buffer_load_dword v24, off, s[48:51], 0 offset:160 ; 4-byte Folded Reload
	;; [unrolled: 1-line block ×4, first 2 shown]
	v_addc_co_u32_e32 v15, vcc, v15, v22, vcc
	global_store_dwordx4 v[14:15], v[0:3], off
	v_add_co_u32_e32 v14, vcc, s3, v14
	v_mul_f64 v[0:1], v[12:13], s[0:1]
	v_mul_f64 v[2:3], v[16:17], s[0:1]
	v_addc_co_u32_e32 v15, vcc, v15, v22, vcc
	s_waitcnt vmcnt(1) lgkmcnt(1)
	v_mul_f64 v[18:19], v[25:26], v[6:7]
	v_mul_f64 v[20:21], v[25:26], v[4:5]
	v_fma_f64 v[4:5], v[23:24], v[4:5], v[18:19]
	v_fma_f64 v[6:7], v[23:24], v[6:7], -v[20:21]
	buffer_load_dword v23, off, s[48:51], 0 offset:92 ; 4-byte Folded Reload
	buffer_load_dword v24, off, s[48:51], 0 offset:96 ; 4-byte Folded Reload
	;; [unrolled: 1-line block ×4, first 2 shown]
	v_mov_b32_e32 v18, s2
	global_store_dwordx4 v[14:15], v[0:3], off
	v_add_co_u32_e32 v14, vcc, s3, v14
	v_addc_co_u32_e32 v15, vcc, v15, v18, vcc
	v_mul_f64 v[0:1], v[4:5], s[0:1]
	v_mul_f64 v[2:3], v[6:7], s[0:1]
	s_waitcnt vmcnt(1) lgkmcnt(0)
	v_mul_f64 v[12:13], v[25:26], v[10:11]
	v_mul_f64 v[16:17], v[25:26], v[8:9]
	v_fma_f64 v[12:13], v[23:24], v[8:9], v[12:13]
	v_fma_f64 v[16:17], v[23:24], v[10:11], -v[16:17]
	ds_read_b128 v[4:7], v255 offset:23296
	ds_read_b128 v[8:11], v255 offset:26208
	buffer_load_dword v26, off, s[48:51], 0 offset:12 ; 4-byte Folded Reload
	buffer_load_dword v27, off, s[48:51], 0 offset:16 ; 4-byte Folded Reload
	;; [unrolled: 1-line block ×4, first 2 shown]
	s_waitcnt vmcnt(0) lgkmcnt(1)
	v_mul_f64 v[18:19], v[28:29], v[6:7]
	v_mul_f64 v[20:21], v[28:29], v[4:5]
	buffer_load_dword v28, off, s[48:51], 0 offset:108 ; 4-byte Folded Reload
	buffer_load_dword v29, off, s[48:51], 0 offset:112 ; 4-byte Folded Reload
	;; [unrolled: 1-line block ×4, first 2 shown]
	v_fma_f64 v[4:5], v[26:27], v[4:5], v[18:19]
	global_store_dwordx4 v[14:15], v[0:3], off
	v_fma_f64 v[6:7], v[26:27], v[6:7], -v[20:21]
	v_mul_f64 v[0:1], v[12:13], s[0:1]
	v_mul_f64 v[2:3], v[16:17], s[0:1]
	v_mov_b32_e32 v13, s2
	v_add_co_u32_e32 v12, vcc, s3, v14
	v_addc_co_u32_e32 v13, vcc, v15, v13, vcc
	v_mov_b32_e32 v14, s2
	global_store_dwordx4 v[12:13], v[0:3], off
	s_nop 0
	v_mul_f64 v[0:1], v[4:5], s[0:1]
	v_mul_f64 v[2:3], v[6:7], s[0:1]
	s_waitcnt vmcnt(2) lgkmcnt(0)
	v_mul_f64 v[22:23], v[30:31], v[10:11]
	v_mul_f64 v[24:25], v[30:31], v[8:9]
	v_fma_f64 v[8:9], v[28:29], v[8:9], v[22:23]
	v_fma_f64 v[10:11], v[28:29], v[10:11], -v[24:25]
	v_mul_f64 v[4:5], v[8:9], s[0:1]
	v_mul_f64 v[6:7], v[10:11], s[0:1]
	v_add_co_u32_e32 v8, vcc, s3, v12
	v_addc_co_u32_e32 v9, vcc, v13, v14, vcc
	global_store_dwordx4 v[8:9], v[0:3], off
	s_nop 0
	v_mov_b32_e32 v1, s2
	v_add_co_u32_e32 v0, vcc, s3, v8
	v_addc_co_u32_e32 v1, vcc, v9, v1, vcc
	global_store_dwordx4 v[0:1], v[4:7], off
.LBB0_18:
	s_endpgm
	.section	.rodata,"a",@progbits
	.p2align	6, 0x0
	.amdhsa_kernel bluestein_single_fwd_len1820_dim1_dp_op_CI_CI
		.amdhsa_group_segment_fixed_size 29120
		.amdhsa_private_segment_fixed_size 504
		.amdhsa_kernarg_size 104
		.amdhsa_user_sgpr_count 6
		.amdhsa_user_sgpr_private_segment_buffer 1
		.amdhsa_user_sgpr_dispatch_ptr 0
		.amdhsa_user_sgpr_queue_ptr 0
		.amdhsa_user_sgpr_kernarg_segment_ptr 1
		.amdhsa_user_sgpr_dispatch_id 0
		.amdhsa_user_sgpr_flat_scratch_init 0
		.amdhsa_user_sgpr_private_segment_size 0
		.amdhsa_uses_dynamic_stack 0
		.amdhsa_system_sgpr_private_segment_wavefront_offset 1
		.amdhsa_system_sgpr_workgroup_id_x 1
		.amdhsa_system_sgpr_workgroup_id_y 0
		.amdhsa_system_sgpr_workgroup_id_z 0
		.amdhsa_system_sgpr_workgroup_info 0
		.amdhsa_system_vgpr_workitem_id 0
		.amdhsa_next_free_vgpr 256
		.amdhsa_next_free_sgpr 52
		.amdhsa_reserve_vcc 1
		.amdhsa_reserve_flat_scratch 0
		.amdhsa_float_round_mode_32 0
		.amdhsa_float_round_mode_16_64 0
		.amdhsa_float_denorm_mode_32 3
		.amdhsa_float_denorm_mode_16_64 3
		.amdhsa_dx10_clamp 1
		.amdhsa_ieee_mode 1
		.amdhsa_fp16_overflow 0
		.amdhsa_exception_fp_ieee_invalid_op 0
		.amdhsa_exception_fp_denorm_src 0
		.amdhsa_exception_fp_ieee_div_zero 0
		.amdhsa_exception_fp_ieee_overflow 0
		.amdhsa_exception_fp_ieee_underflow 0
		.amdhsa_exception_fp_ieee_inexact 0
		.amdhsa_exception_int_div_zero 0
	.end_amdhsa_kernel
	.text
.Lfunc_end0:
	.size	bluestein_single_fwd_len1820_dim1_dp_op_CI_CI, .Lfunc_end0-bluestein_single_fwd_len1820_dim1_dp_op_CI_CI
                                        ; -- End function
	.section	.AMDGPU.csdata,"",@progbits
; Kernel info:
; codeLenInByte = 24384
; NumSgprs: 56
; NumVgprs: 256
; ScratchSize: 504
; MemoryBound: 0
; FloatMode: 240
; IeeeMode: 1
; LDSByteSize: 29120 bytes/workgroup (compile time only)
; SGPRBlocks: 6
; VGPRBlocks: 63
; NumSGPRsForWavesPerEU: 56
; NumVGPRsForWavesPerEU: 256
; Occupancy: 1
; WaveLimiterHint : 1
; COMPUTE_PGM_RSRC2:SCRATCH_EN: 1
; COMPUTE_PGM_RSRC2:USER_SGPR: 6
; COMPUTE_PGM_RSRC2:TRAP_HANDLER: 0
; COMPUTE_PGM_RSRC2:TGID_X_EN: 1
; COMPUTE_PGM_RSRC2:TGID_Y_EN: 0
; COMPUTE_PGM_RSRC2:TGID_Z_EN: 0
; COMPUTE_PGM_RSRC2:TIDIG_COMP_CNT: 0
	.type	__hip_cuid_c3c258ca24c95825,@object ; @__hip_cuid_c3c258ca24c95825
	.section	.bss,"aw",@nobits
	.globl	__hip_cuid_c3c258ca24c95825
__hip_cuid_c3c258ca24c95825:
	.byte	0                               ; 0x0
	.size	__hip_cuid_c3c258ca24c95825, 1

	.ident	"AMD clang version 19.0.0git (https://github.com/RadeonOpenCompute/llvm-project roc-6.4.0 25133 c7fe45cf4b819c5991fe208aaa96edf142730f1d)"
	.section	".note.GNU-stack","",@progbits
	.addrsig
	.addrsig_sym __hip_cuid_c3c258ca24c95825
	.amdgpu_metadata
---
amdhsa.kernels:
  - .args:
      - .actual_access:  read_only
        .address_space:  global
        .offset:         0
        .size:           8
        .value_kind:     global_buffer
      - .actual_access:  read_only
        .address_space:  global
        .offset:         8
        .size:           8
        .value_kind:     global_buffer
      - .actual_access:  read_only
        .address_space:  global
        .offset:         16
        .size:           8
        .value_kind:     global_buffer
      - .actual_access:  read_only
        .address_space:  global
        .offset:         24
        .size:           8
        .value_kind:     global_buffer
      - .actual_access:  read_only
        .address_space:  global
        .offset:         32
        .size:           8
        .value_kind:     global_buffer
      - .offset:         40
        .size:           8
        .value_kind:     by_value
      - .address_space:  global
        .offset:         48
        .size:           8
        .value_kind:     global_buffer
      - .address_space:  global
        .offset:         56
        .size:           8
        .value_kind:     global_buffer
      - .address_space:  global
        .offset:         64
        .size:           8
        .value_kind:     global_buffer
      - .address_space:  global
        .offset:         72
        .size:           8
        .value_kind:     global_buffer
      - .offset:         80
        .size:           4
        .value_kind:     by_value
      - .address_space:  global
        .offset:         88
        .size:           8
        .value_kind:     global_buffer
      - .address_space:  global
        .offset:         96
        .size:           8
        .value_kind:     global_buffer
    .group_segment_fixed_size: 29120
    .kernarg_segment_align: 8
    .kernarg_segment_size: 104
    .language:       OpenCL C
    .language_version:
      - 2
      - 0
    .max_flat_workgroup_size: 182
    .name:           bluestein_single_fwd_len1820_dim1_dp_op_CI_CI
    .private_segment_fixed_size: 504
    .sgpr_count:     56
    .sgpr_spill_count: 0
    .symbol:         bluestein_single_fwd_len1820_dim1_dp_op_CI_CI.kd
    .uniform_work_group_size: 1
    .uses_dynamic_stack: false
    .vgpr_count:     256
    .vgpr_spill_count: 171
    .wavefront_size: 64
amdhsa.target:   amdgcn-amd-amdhsa--gfx906
amdhsa.version:
  - 1
  - 2
...

	.end_amdgpu_metadata
